;; amdgpu-corpus repo=ROCm/rocFFT kind=compiled arch=gfx1201 opt=O3
	.text
	.amdgcn_target "amdgcn-amd-amdhsa--gfx1201"
	.amdhsa_code_object_version 6
	.protected	bluestein_single_back_len3600_dim1_dp_op_CI_CI ; -- Begin function bluestein_single_back_len3600_dim1_dp_op_CI_CI
	.globl	bluestein_single_back_len3600_dim1_dp_op_CI_CI
	.p2align	8
	.type	bluestein_single_back_len3600_dim1_dp_op_CI_CI,@function
bluestein_single_back_len3600_dim1_dp_op_CI_CI: ; @bluestein_single_back_len3600_dim1_dp_op_CI_CI
; %bb.0:
	s_load_b128 s[16:19], s[0:1], 0x28
	v_mul_u32_u24_e32 v1, 0x223, v0
	s_mov_b32 s2, exec_lo
	v_mov_b32_e32 v3, 0
	s_delay_alu instid0(VALU_DEP_2) | instskip(NEXT) | instid1(VALU_DEP_1)
	v_lshrrev_b32_e32 v1, 16, v1
	v_add_nc_u32_e32 v2, ttmp9, v1
	s_wait_kmcnt 0x0
	s_delay_alu instid0(VALU_DEP_1)
	v_cmpx_gt_u64_e64 s[16:17], v[2:3]
	s_cbranch_execz .LBB0_2
; %bb.1:
	s_clause 0x1
	s_load_b128 s[4:7], s[0:1], 0x18
	s_load_b128 s[8:11], s[0:1], 0x0
	v_mul_lo_u16 v1, 0x78, v1
	s_mov_b32 s16, 0x134454ff
	s_mov_b32 s17, 0x3fee6f0e
	;; [unrolled: 1-line block ×4, first 2 shown]
	v_sub_nc_u16 v220, v0, v1
	s_mov_b32 s21, 0xbfd3c6ef
	s_mov_b32 s23, 0xbfe9e377
	v_mov_b32_e32 v4, v2
	s_mov_b32 s22, s24
	v_and_b32_e32 v221, 0xffff, v220
	s_mov_b32 s29, 0xbfebb67a
	s_load_b64 s[0:1], s[0:1], 0x38
	s_delay_alu instid0(VALU_DEP_1)
	v_or_b32_e32 v8, 0x780, v221
	scratch_store_b64 off, v[4:5], off offset:4 ; 8-byte Folded Spill
	v_lshlrev_b32_e32 v20, 4, v221
	s_wait_kmcnt 0x0
	s_load_b128 s[12:15], s[4:5], 0x0
	scratch_store_b32 off, v8, off          ; 4-byte Folded Spill
	s_wait_kmcnt 0x0
	v_mad_co_u64_u32 v[0:1], null, s14, v2, 0
	v_mad_co_u64_u32 v[2:3], null, s12, v221, 0
	s_mul_u64 s[2:3], s[12:13], 0x1680
	s_mul_i32 s4, s13, 0xffff3d00
	s_delay_alu instid0(SALU_CYCLE_1) | instskip(NEXT) | instid1(VALU_DEP_1)
	s_sub_co_i32 s4, s4, s12
	v_mad_co_u64_u32 v[4:5], null, s15, v4, v[1:2]
	s_mov_b32 s14, 0x372fe950
	s_mov_b32 s15, 0x3fd3c6ef
	s_wait_alu 0xfffe
	s_mov_b32 s20, s14
	s_delay_alu instid0(VALU_DEP_1) | instskip(SKIP_1) | instid1(VALU_DEP_1)
	v_mad_co_u64_u32 v[5:6], null, s13, v221, v[3:4]
	v_mov_b32_e32 v1, v4
	v_lshlrev_b64_e32 v[0:1], 4, v[0:1]
	s_delay_alu instid0(VALU_DEP_3) | instskip(SKIP_1) | instid1(VALU_DEP_2)
	v_mov_b32_e32 v3, v5
	v_mad_co_u64_u32 v[4:5], null, s12, v8, 0
	v_lshlrev_b64_e32 v[2:3], 4, v[2:3]
	s_delay_alu instid0(VALU_DEP_4) | instskip(SKIP_2) | instid1(VALU_DEP_2)
	v_add_co_u32 v10, vcc_lo, s18, v0
	v_add_co_ci_u32_e32 v11, vcc_lo, s19, v1, vcc_lo
	s_mov_b32 s19, 0xbfee6f0e
	v_add_co_u32 v6, vcc_lo, v10, v2
	s_wait_alu 0xfffd
	s_delay_alu instid0(VALU_DEP_2) | instskip(SKIP_4) | instid1(VALU_DEP_1)
	v_add_co_ci_u32_e32 v7, vcc_lo, v11, v3, vcc_lo
	global_load_b128 v[79:82], v20, s[8:9]
	global_load_b128 v[0:3], v[6:7], off
	v_mad_co_u64_u32 v[8:9], null, s13, v8, v[5:6]
	s_mov_b32 s18, s16
	v_mov_b32_e32 v5, v8
	s_delay_alu instid0(VALU_DEP_1) | instskip(NEXT) | instid1(VALU_DEP_1)
	v_lshlrev_b64_e32 v[4:5], 4, v[4:5]
	v_add_co_u32 v4, vcc_lo, v10, v4
	s_wait_alu 0xfffd
	s_delay_alu instid0(VALU_DEP_2)
	v_add_co_ci_u32_e32 v5, vcc_lo, v11, v5, vcc_lo
	v_add_co_u32 v12, vcc_lo, v6, s2
	s_wait_alu 0xfffd
	v_add_co_ci_u32_e32 v13, vcc_lo, s3, v7, vcc_lo
	global_load_b128 v[55:58], v20, s[8:9] offset:30720
	global_load_b128 v[4:7], v[4:5], off
	global_load_b128 v[83:86], v20, s[8:9] offset:5760
	global_load_b128 v[8:11], v[12:13], off
	v_add_co_u32 v12, vcc_lo, v12, s2
	s_wait_alu 0xfffd
	v_add_co_ci_u32_e32 v13, vcc_lo, s3, v13, vcc_lo
	global_load_b128 v[91:94], v20, s[8:9] offset:11520
	v_add_co_u32 v21, vcc_lo, v12, s2
	s_wait_alu 0xfffd
	v_add_co_ci_u32_e32 v22, vcc_lo, s3, v13, vcc_lo
	global_load_b128 v[12:15], v[12:13], off
	global_load_b128 v[87:90], v20, s[8:9] offset:17280
	global_load_b128 v[16:19], v[21:22], off
	v_add_co_u32 v21, vcc_lo, v21, s2
	s_wait_alu 0xfffd
	v_add_co_ci_u32_e32 v22, vcc_lo, s3, v22, vcc_lo
	global_load_b128 v[95:98], v20, s[8:9] offset:23040
	v_add_co_u32 v29, vcc_lo, v21, s2
	s_wait_alu 0xfffd
	v_add_co_ci_u32_e32 v30, vcc_lo, s3, v22, vcc_lo
	;; [unrolled: 10-line block ×4, first 2 shown]
	global_load_b128 v[37:40], v[37:38], off
	global_load_b128 v[67:70], v20, s[8:9] offset:51840
	global_load_b128 v[41:44], v[45:46], off
	s_wait_loadcnt 0x15
	scratch_store_b128 off, v[79:82], off offset:476 ; 16-byte Folded Spill
	s_wait_loadcnt 0x14
	v_mul_f64_e32 v[47:48], v[2:3], v[81:82]
	v_mul_f64_e32 v[49:50], v[0:1], v[81:82]
	s_wait_loadcnt 0x13
	v_mov_b32_e32 v102, v58
	v_mov_b32_e32 v100, v56
	s_wait_loadcnt 0x12
	v_mul_f64_e32 v[51:52], v[6:7], v[57:58]
	v_mul_f64_e32 v[53:54], v[4:5], v[57:58]
	v_mov_b32_e32 v101, v57
	v_mov_b32_e32 v99, v55
	s_wait_loadcnt 0x10
	v_mul_f64_e32 v[55:56], v[10:11], v[85:86]
	scratch_store_b128 off, v[83:86], off offset:396 ; 16-byte Folded Spill
	s_wait_loadcnt 0xf
	scratch_store_b128 off, v[91:94], off offset:412 ; 16-byte Folded Spill
	s_wait_loadcnt 0xd
	scratch_store_b128 off, v[87:90], off offset:428 ; 16-byte Folded Spill
	v_fma_f64 v[0:1], v[0:1], v[79:80], v[47:48]
	v_mul_f64_e32 v[47:48], v[8:9], v[85:86]
	v_fma_f64 v[2:3], v[2:3], v[79:80], -v[49:50]
	v_mul_f64_e32 v[49:50], v[14:15], v[93:94]
	s_wait_loadcnt 0xb
	scratch_store_b128 off, v[95:98], off offset:444 ; 16-byte Folded Spill
	s_wait_loadcnt 0x9
	scratch_store_b128 off, v[71:74], off offset:460 ; 16-byte Folded Spill
	s_wait_loadcnt 0x5
	scratch_store_b128 off, v[59:62], off offset:364 ; 16-byte Folded Spill
	v_fma_f64 v[4:5], v[4:5], v[99:100], v[51:52]
	v_fma_f64 v[6:7], v[6:7], v[99:100], -v[53:54]
	v_mul_f64_e32 v[51:52], v[12:13], v[93:94]
	v_mul_f64_e32 v[53:54], v[18:19], v[89:90]
	v_fma_f64 v[8:9], v[8:9], v[83:84], v[55:56]
	v_mul_f64_e32 v[55:56], v[23:24], v[97:98]
	s_wait_loadcnt 0x3
	scratch_store_b128 off, v[63:66], off offset:300 ; 16-byte Folded Spill
	s_wait_loadcnt 0x1
	scratch_store_b128 off, v[67:70], off offset:316 ; 16-byte Folded Spill
	v_fma_f64 v[10:11], v[10:11], v[83:84], -v[47:48]
	v_mul_f64_e32 v[47:48], v[16:17], v[89:90]
	v_fma_f64 v[12:13], v[12:13], v[91:92], v[49:50]
	v_mul_f64_e32 v[49:50], v[21:22], v[97:98]
	v_fma_f64 v[14:15], v[14:15], v[91:92], -v[51:52]
	v_mul_f64_e32 v[51:52], v[27:28], v[73:74]
	v_fma_f64 v[16:17], v[16:17], v[87:88], v[53:54]
	v_fma_f64 v[21:22], v[21:22], v[95:96], v[55:56]
	v_mul_f64_e32 v[55:56], v[35:36], v[61:62]
	v_mul_f64_e32 v[53:54], v[31:32], v[77:78]
	v_fma_f64 v[18:19], v[18:19], v[87:88], -v[47:48]
	v_mul_f64_e32 v[47:48], v[25:26], v[73:74]
	v_fma_f64 v[23:24], v[23:24], v[95:96], -v[49:50]
	v_mul_f64_e32 v[49:50], v[29:30], v[77:78]
	v_fma_f64 v[25:26], v[25:26], v[71:72], v[51:52]
	v_mul_f64_e32 v[51:52], v[39:40], v[65:66]
	v_fma_f64 v[29:30], v[29:30], v[75:76], v[53:54]
	s_wait_loadcnt 0x0
	v_mul_f64_e32 v[53:54], v[43:44], v[69:70]
	v_fma_f64 v[27:28], v[27:28], v[71:72], -v[47:48]
	v_mul_f64_e32 v[47:48], v[33:34], v[61:62]
	v_fma_f64 v[33:34], v[33:34], v[59:60], v[55:56]
	v_mad_co_u64_u32 v[55:56], null, 0xffff3d00, s12, v[45:46]
	v_fma_f64 v[31:32], v[31:32], v[75:76], -v[49:50]
	v_mul_f64_e32 v[49:50], v[37:38], v[65:66]
	s_delay_alu instid0(VALU_DEP_3)
	v_add_nc_u32_e32 v56, s4, v56
	v_fma_f64 v[37:38], v[37:38], v[63:64], v[51:52]
	v_fma_f64 v[35:36], v[35:36], v[59:60], -v[47:48]
	v_mul_f64_e32 v[47:48], v[41:42], v[69:70]
	global_load_b128 v[57:60], v20, s[8:9] offset:1920
	v_fma_f64 v[41:42], v[41:42], v[67:68], v[53:54]
	v_add_co_u32 v53, vcc_lo, v55, s2
	v_fma_f64 v[39:40], v[39:40], v[63:64], -v[49:50]
	s_wait_alu 0xfffd
	v_add_co_ci_u32_e32 v54, vcc_lo, s3, v56, vcc_lo
	global_load_b128 v[63:66], v20, s[8:9] offset:13440
	v_fma_f64 v[43:44], v[43:44], v[67:68], -v[47:48]
	global_load_b128 v[45:48], v[55:56], off
	global_load_b128 v[67:70], v20, s[8:9] offset:19200
	scratch_store_b128 off, v[75:78], off offset:348 ; 16-byte Folded Spill
	s_wait_loadcnt 0x3
	scratch_store_b128 off, v[57:60], off offset:284 ; 16-byte Folded Spill
	s_wait_loadcnt 0x2
	;; [unrolled: 2-line block ×3, first 2 shown]
	v_mul_f64_e32 v[49:50], v[47:48], v[59:60]
	v_mul_f64_e32 v[51:52], v[45:46], v[59:60]
	global_load_b128 v[59:62], v20, s[8:9] offset:7680
	scratch_store_b128 off, v[99:102], off offset:156 ; 16-byte Folded Spill
	s_wait_loadcnt 0x1
	scratch_store_b128 off, v[67:70], off offset:332 ; 16-byte Folded Spill
	v_fma_f64 v[45:46], v[45:46], v[57:58], v[49:50]
	v_fma_f64 v[47:48], v[47:48], v[57:58], -v[51:52]
	global_load_b128 v[49:52], v[53:54], off
	s_wait_loadcnt 0x1
	scratch_store_b128 off, v[59:62], off offset:252 ; 16-byte Folded Spill
	s_wait_loadcnt 0x0
	v_mul_f64_e32 v[57:58], v[49:50], v[61:62]
	v_mul_f64_e32 v[55:56], v[51:52], v[61:62]
	s_delay_alu instid0(VALU_DEP_2) | instskip(SKIP_3) | instid1(VALU_DEP_4)
	v_fma_f64 v[51:52], v[51:52], v[59:60], -v[57:58]
	v_add_co_u32 v57, vcc_lo, v53, s2
	s_wait_alu 0xfffd
	v_add_co_ci_u32_e32 v58, vcc_lo, s3, v54, vcc_lo
	v_fma_f64 v[49:50], v[49:50], v[59:60], v[55:56]
	global_load_b128 v[53:56], v[57:58], off
	s_wait_loadcnt 0x0
	v_mul_f64_e32 v[61:62], v[53:54], v[65:66]
	v_mul_f64_e32 v[59:60], v[55:56], v[65:66]
	s_delay_alu instid0(VALU_DEP_2) | instskip(SKIP_3) | instid1(VALU_DEP_4)
	v_fma_f64 v[55:56], v[55:56], v[63:64], -v[61:62]
	v_add_co_u32 v61, vcc_lo, v57, s2
	s_wait_alu 0xfffd
	v_add_co_ci_u32_e32 v62, vcc_lo, s3, v58, vcc_lo
	v_fma_f64 v[53:54], v[53:54], v[63:64], v[59:60]
	global_load_b128 v[57:60], v[61:62], off
	s_wait_loadcnt 0x0
	v_mul_f64_e32 v[65:66], v[57:58], v[69:70]
	v_mul_f64_e32 v[63:64], v[59:60], v[69:70]
	s_delay_alu instid0(VALU_DEP_2) | instskip(SKIP_3) | instid1(VALU_DEP_4)
	v_fma_f64 v[59:60], v[59:60], v[67:68], -v[65:66]
	v_add_co_u32 v65, vcc_lo, v61, s2
	s_wait_alu 0xfffd
	v_add_co_ci_u32_e32 v66, vcc_lo, s3, v62, vcc_lo
	v_fma_f64 v[57:58], v[57:58], v[67:68], v[63:64]
	global_load_b128 v[71:74], v20, s[8:9] offset:24960
	global_load_b128 v[61:64], v[65:66], off
	s_clause 0xc
	global_load_b128 v[75:78], v20, s[8:9] offset:36480
	global_load_b128 v[115:118], v20, s[8:9] offset:38400
	;; [unrolled: 1-line block ×13, first 2 shown]
	s_wait_loadcnt 0xe
	scratch_store_b128 off, v[71:74], off offset:380 ; 16-byte Folded Spill
	s_wait_loadcnt 0xd
	v_mul_f64_e32 v[69:70], v[61:62], v[73:74]
	s_wait_loadcnt 0xc
	scratch_store_b128 off, v[75:78], off offset:236 ; 16-byte Folded Spill
	v_mul_f64_e32 v[67:68], v[63:64], v[73:74]
	s_wait_loadcnt 0xa
	s_clause 0x1
	scratch_store_b128 off, v[79:82], off offset:220
	scratch_store_b128 off, v[115:118], off offset:28
	s_wait_loadcnt 0x8
	s_clause 0x1
	scratch_store_b128 off, v[83:86], off offset:204
	scratch_store_b128 off, v[119:122], off offset:44
	s_wait_loadcnt 0x6
	scratch_store_b128 off, v[87:90], off offset:188 ; 16-byte Folded Spill
	s_wait_loadcnt 0x5
	scratch_store_b128 off, v[91:94], off offset:172 ; 16-byte Folded Spill
	;; [unrolled: 2-line block ×5, first 2 shown]
	s_wait_loadcnt 0x1
	s_clause 0x1
	scratch_store_b128 off, v[107:110], off offset:124
	scratch_store_b128 off, v[123:126], off offset:108
	s_wait_loadcnt 0x0
	scratch_store_b128 off, v[111:114], off offset:12 ; 16-byte Folded Spill
	v_fma_f64 v[63:64], v[63:64], v[71:72], -v[69:70]
	v_mad_co_u64_u32 v[69:70], null, 0x2d00, s12, v[65:66]
	v_fma_f64 v[61:62], v[61:62], v[71:72], v[67:68]
	s_delay_alu instid0(VALU_DEP_2) | instskip(NEXT) | instid1(VALU_DEP_1)
	v_mov_b32_e32 v65, v70
	v_mad_co_u64_u32 v[65:66], null, 0x2d00, s13, v[65:66]
	s_mov_b32 s13, 0xbfe2cf23
	s_delay_alu instid0(VALU_DEP_1) | instskip(SKIP_4) | instid1(VALU_DEP_2)
	v_mov_b32_e32 v70, v65
	global_load_b128 v[65:68], v[69:70], off
	s_wait_loadcnt 0x0
	v_mul_f64_e32 v[73:74], v[65:66], v[77:78]
	v_mul_f64_e32 v[71:72], v[67:68], v[77:78]
	v_fma_f64 v[67:68], v[67:68], v[75:76], -v[73:74]
	v_add_co_u32 v73, vcc_lo, v69, s2
	s_wait_alu 0xfffd
	v_add_co_ci_u32_e32 v74, vcc_lo, s3, v70, vcc_lo
	s_delay_alu instid0(VALU_DEP_4) | instskip(SKIP_4) | instid1(VALU_DEP_2)
	v_fma_f64 v[65:66], v[65:66], v[75:76], v[71:72]
	global_load_b128 v[69:72], v[73:74], off
	s_wait_loadcnt 0x0
	v_mul_f64_e32 v[77:78], v[69:70], v[81:82]
	v_mul_f64_e32 v[75:76], v[71:72], v[81:82]
	v_fma_f64 v[71:72], v[71:72], v[79:80], -v[77:78]
	v_add_co_u32 v77, vcc_lo, v73, s2
	s_wait_alu 0xfffd
	v_add_co_ci_u32_e32 v78, vcc_lo, s3, v74, vcc_lo
	s_delay_alu instid0(VALU_DEP_4) | instskip(SKIP_4) | instid1(VALU_DEP_2)
	v_fma_f64 v[69:70], v[69:70], v[79:80], v[75:76]
	;; [unrolled: 10-line block ×3, first 2 shown]
	global_load_b128 v[77:80], v[81:82], off
	s_wait_loadcnt 0x0
	v_mul_f64_e32 v[85:86], v[77:78], v[89:90]
	v_mul_f64_e32 v[83:84], v[79:80], v[89:90]
	v_fma_f64 v[79:80], v[79:80], v[87:88], -v[85:86]
	v_mad_co_u64_u32 v[85:86], null, 0xffff3d00, s12, v[81:82]
	s_delay_alu instid0(VALU_DEP_3) | instskip(NEXT) | instid1(VALU_DEP_2)
	v_fma_f64 v[77:78], v[77:78], v[87:88], v[83:84]
	v_add_nc_u32_e32 v86, s4, v86
	global_load_b128 v[81:84], v[85:86], off
	s_wait_loadcnt 0x0
	v_mul_f64_e32 v[89:90], v[81:82], v[93:94]
	v_mul_f64_e32 v[87:88], v[83:84], v[93:94]
	s_delay_alu instid0(VALU_DEP_2) | instskip(SKIP_3) | instid1(VALU_DEP_4)
	v_fma_f64 v[83:84], v[83:84], v[91:92], -v[89:90]
	v_add_co_u32 v89, vcc_lo, v85, s2
	s_wait_alu 0xfffd
	v_add_co_ci_u32_e32 v90, vcc_lo, s3, v86, vcc_lo
	v_fma_f64 v[81:82], v[81:82], v[91:92], v[87:88]
	global_load_b128 v[85:88], v[89:90], off
	s_wait_loadcnt 0x0
	v_mul_f64_e32 v[93:94], v[85:86], v[97:98]
	v_mul_f64_e32 v[91:92], v[87:88], v[97:98]
	s_delay_alu instid0(VALU_DEP_2) | instskip(SKIP_3) | instid1(VALU_DEP_4)
	v_fma_f64 v[87:88], v[87:88], v[95:96], -v[93:94]
	v_add_co_u32 v93, vcc_lo, v89, s2
	s_wait_alu 0xfffd
	v_add_co_ci_u32_e32 v94, vcc_lo, s3, v90, vcc_lo
	v_fma_f64 v[85:86], v[85:86], v[95:96], v[91:92]
	;; [unrolled: 10-line block ×8, first 2 shown]
	global_load_b128 v[113:116], v[117:118], off
	v_add_co_u32 v117, vcc_lo, v117, s2
	s_wait_alu 0xfffd
	v_add_co_ci_u32_e32 v118, vcc_lo, s3, v118, vcc_lo
	s_mov_b32 s2, 0x4755a5e
	s_mov_b32 s3, 0x3fe2cf23
	s_wait_alu 0xfffe
	s_mov_b32 s12, s2
	v_cmp_gt_u16_e64 vcc_lo, 0x64, v220
	s_wait_loadcnt 0x0
	v_mul_f64_e32 v[119:120], v[115:116], v[125:126]
	v_mul_f64_e32 v[121:122], v[113:114], v[125:126]
	s_delay_alu instid0(VALU_DEP_2)
	v_fma_f64 v[113:114], v[113:114], v[123:124], v[119:120]
	global_load_b128 v[117:120], v[117:118], off
	global_load_b128 v[125:128], v20, s[8:9] offset:55680
	v_fma_f64 v[115:116], v[115:116], v[123:124], -v[121:122]
	s_wait_loadcnt 0x0
	v_mul_f64_e32 v[121:122], v[119:120], v[127:128]
	v_mul_f64_e32 v[123:124], v[117:118], v[127:128]
	scratch_store_b128 off, v[125:128], off offset:140 ; 16-byte Folded Spill
	v_fma_f64 v[117:118], v[117:118], v[125:126], v[121:122]
	v_fma_f64 v[119:120], v[119:120], v[125:126], -v[123:124]
	ds_store_b128 v20, v[0:3]
	ds_store_b128 v20, v[4:7] offset:30720
	ds_store_b128 v20, v[8:11] offset:5760
	;; [unrolled: 1-line block ×29, first 2 shown]
	s_load_b128 s[4:7], s[6:7], 0x0
	global_wb scope:SCOPE_SE
	s_wait_storecnt_dscnt 0x0
	s_wait_kmcnt 0x0
	s_barrier_signal -1
	s_barrier_wait -1
	global_inv scope:SCOPE_SE
	ds_load_b128 v[4:7], v20 offset:11520
	ds_load_b128 v[0:3], v20
	ds_load_b128 v[12:15], v20 offset:23040
	ds_load_b128 v[32:35], v20 offset:34560
	s_wait_dscnt 0x2
	v_add_f64_e32 v[8:9], v[0:1], v[4:5]
	s_wait_dscnt 0x1
	v_add_f64_e64 v[48:49], v[4:5], -v[12:13]
	s_wait_dscnt 0x0
	v_add_f64_e32 v[200:201], v[12:13], v[32:33]
	v_add_f64_e64 v[24:25], v[14:15], -v[34:35]
	v_add_f64_e32 v[10:11], v[14:15], v[34:35]
	v_add_f64_e64 v[26:27], v[12:13], -v[32:33]
	v_add_f64_e64 v[50:51], v[6:7], -v[14:15]
	;; [unrolled: 1-line block ×3, first 2 shown]
	v_add_f64_e32 v[21:22], v[8:9], v[12:13]
	v_add_f64_e32 v[8:9], v[2:3], v[6:7]
	v_fma_f64 v[200:201], v[200:201], -0.5, v[0:1]
	v_fma_f64 v[10:11], v[10:11], -0.5, v[2:3]
	s_delay_alu instid0(VALU_DEP_3)
	v_add_f64_e32 v[40:41], v[8:9], v[14:15]
	v_add_f64_e64 v[8:9], v[12:13], -v[4:5]
	ds_load_b128 v[12:15], v20 offset:46080
	s_wait_dscnt 0x0
	v_add_f64_e64 v[28:29], v[6:7], -v[14:15]
	v_add_f64_e32 v[16:17], v[4:5], v[12:13]
	v_add_f64_e64 v[30:31], v[4:5], -v[12:13]
	v_add_f64_e32 v[18:19], v[6:7], v[14:15]
	v_add_f64_e32 v[4:5], v[21:22], v[32:33]
	v_add_f64_e64 v[54:55], v[12:13], -v[32:33]
	v_add_f64_e64 v[42:43], v[32:33], -v[12:13]
	;; [unrolled: 1-line block ×4, first 2 shown]
	v_add_f64_e32 v[6:7], v[40:41], v[34:35]
	scratch_store_b64 off, v[8:9], off offset:496 ; 8-byte Folded Spill
	v_fma_f64 v[214:215], v[16:17], -0.5, v[0:1]
	v_add_f64_e32 v[12:13], v[4:5], v[12:13]
	v_add_f64_e32 v[46:47], v[38:39], v[46:47]
	;; [unrolled: 1-line block ×3, first 2 shown]
	ds_load_b128 v[4:7], v20 offset:5760
	ds_load_b128 v[60:63], v20 offset:17280
	;; [unrolled: 1-line block ×4, first 2 shown]
	s_wait_dscnt 0x2
	v_add_f64_e32 v[21:22], v[4:5], v[60:61]
	s_wait_dscnt 0x1
	v_add_f64_e64 v[66:67], v[60:61], -v[70:71]
	s_wait_dscnt 0x0
	v_add_f64_e32 v[206:207], v[70:71], v[78:79]
	v_add_f64_e64 v[32:33], v[72:73], -v[80:81]
	v_add_f64_e64 v[52:53], v[70:71], -v[60:61]
	v_add_f64_e64 v[34:35], v[70:71], -v[78:79]
	v_add_f64_e64 v[58:59], v[72:73], -v[62:63]
	v_add_f64_e32 v[64:65], v[21:22], v[70:71]
	v_add_f64_e32 v[21:22], v[6:7], v[62:63]
	v_add_f64_e64 v[70:71], v[62:63], -v[72:73]
	v_fma_f64 v[206:207], v[206:207], -0.5, v[4:5]
	s_delay_alu instid0(VALU_DEP_3)
	v_add_f64_e32 v[68:69], v[21:22], v[72:73]
	v_add_f64_e32 v[22:23], v[72:73], v[80:81]
	ds_load_b128 v[72:75], v20 offset:51840
	ds_load_b128 v[166:169], v20 offset:1920
	ds_load_b128 v[86:89], v20 offset:13440
	ds_load_b128 v[98:101], v20 offset:36480
	ds_load_b128 v[102:105], v20 offset:48000
	s_wait_dscnt 0x4
	v_add_f64_e32 v[208:209], v[60:61], v[72:73]
	v_add_f64_e64 v[40:41], v[60:61], -v[72:73]
	v_add_f64_e32 v[60:61], v[64:65], v[78:79]
	v_add_f64_e64 v[44:45], v[62:63], -v[74:75]
	;; [unrolled: 2-line block ×3, first 2 shown]
	v_add_f64_e64 v[62:63], v[78:79], -v[72:73]
	v_add_f64_e64 v[78:79], v[74:75], -v[80:81]
	;; [unrolled: 1-line block ×3, first 2 shown]
	s_wait_dscnt 0x0
	v_add_f64_e32 v[198:199], v[86:87], v[102:103]
	v_add_f64_e32 v[232:233], v[88:89], v[104:105]
	v_add_f64_e64 v[96:97], v[102:103], -v[98:99]
	v_add_f64_e64 v[76:77], v[104:105], -v[100:101]
	v_add_f64_e32 v[68:69], v[68:69], v[80:81]
	v_fma_f64 v[21:22], v[22:23], -0.5, v[6:7]
	v_add_f64_e32 v[190:191], v[60:61], v[72:73]
	v_add_f64_e32 v[60:61], v[166:167], v[86:87]
	;; [unrolled: 1-line block ×5, first 2 shown]
	v_fma_f64 v[198:199], v[198:199], -0.5, v[166:167]
	v_add_f64_e32 v[192:193], v[68:69], v[74:75]
	ds_load_b128 v[72:75], v20 offset:24960
	ds_load_b128 v[112:115], v20 offset:19200
	ds_load_b128 v[172:175], v20 offset:7680
	ds_load_b128 v[120:123], v20 offset:42240
	ds_load_b128 v[128:131], v20 offset:53760
	s_wait_dscnt 0x4
	v_add_f64_e32 v[194:195], v[72:73], v[98:99]
	v_add_f64_e64 v[84:85], v[86:87], -v[72:73]
	v_add_f64_e64 v[80:81], v[72:73], -v[86:87]
	v_add_f64_e32 v[196:197], v[74:75], v[100:101]
	v_add_f64_e32 v[90:91], v[60:61], v[72:73]
	;; [unrolled: 1-line block ×3, first 2 shown]
	v_add_f64_e64 v[68:69], v[72:73], -v[98:99]
	v_add_f64_e64 v[92:93], v[88:89], -v[74:75]
	;; [unrolled: 1-line block ×5, first 2 shown]
	s_wait_dscnt 0x0
	v_add_f64_e32 v[242:243], v[112:113], v[128:129]
	v_add_f64_e32 v[244:245], v[114:115], v[130:131]
	v_add_f64_e64 v[124:125], v[128:129], -v[120:121]
	v_add_f64_e64 v[126:127], v[130:131], -v[122:123]
	;; [unrolled: 1-line block ×3, first 2 shown]
	v_add_f64_e32 v[218:219], v[14:15], v[192:193]
	v_add_f64_e32 v[90:91], v[90:91], v[98:99]
	;; [unrolled: 1-line block ×3, first 2 shown]
	v_add_f64_e64 v[60:61], v[74:75], -v[100:101]
	v_add_f64_e64 v[74:75], v[86:87], -v[102:103]
	v_add_f64_e64 v[86:87], v[98:99], -v[102:103]
	v_add_f64_e32 v[234:235], v[90:91], v[102:103]
	v_add_f64_e32 v[90:91], v[172:173], v[112:113]
	;; [unrolled: 1-line block ×3, first 2 shown]
	ds_load_b128 v[100:103], v20 offset:30720
	ds_load_b128 v[222:225], v20 offset:3840
	;; [unrolled: 1-line block ×5, first 2 shown]
	s_wait_dscnt 0x4
	v_add_f64_e32 v[238:239], v[100:101], v[120:121]
	v_add_f64_e64 v[110:111], v[112:113], -v[100:101]
	v_add_f64_e32 v[240:241], v[102:103], v[122:123]
	v_add_f64_e64 v[118:119], v[114:115], -v[102:103]
	v_add_f64_e64 v[108:109], v[102:103], -v[114:115]
	s_wait_dscnt 0x0
	v_add_f64_e32 v[254:255], v[134:135], v[150:151]
	v_add_f64_e32 v[204:205], v[136:137], v[152:153]
	v_add_f64_e64 v[144:145], v[150:151], -v[146:147]
	v_add_f64_e32 v[106:107], v[90:91], v[100:101]
	v_add_f64_e32 v[90:91], v[174:175], v[114:115]
	v_add_f64_e32 v[236:237], v[94:95], v[104:105]
	v_add_f64_e64 v[104:105], v[100:101], -v[112:113]
	v_add_f64_e64 v[94:95], v[100:101], -v[120:121]
	v_add_f64_e64 v[100:101], v[112:113], -v[128:129]
	v_fma_f64 v[204:205], v[204:205], -0.5, v[224:225]
	v_add_f64_e32 v[106:107], v[106:107], v[120:121]
	v_add_f64_e32 v[116:117], v[90:91], v[102:103]
	v_add_f64_e64 v[90:91], v[102:103], -v[122:123]
	v_add_f64_e64 v[102:103], v[114:115], -v[130:131]
	;; [unrolled: 1-line block ×3, first 2 shown]
	v_add_f64_e32 v[246:247], v[106:107], v[128:129]
	v_add_f64_e32 v[106:107], v[222:223], v[134:135]
	;; [unrolled: 1-line block ×3, first 2 shown]
	v_add_f64_e64 v[116:117], v[122:123], -v[130:131]
	ds_load_b128 v[120:123], v20 offset:26880
	ds_load_b128 v[226:229], v20 offset:9600
	;; [unrolled: 1-line block ×5, first 2 shown]
	s_wait_dscnt 0x4
	v_add_f64_e64 v[132:133], v[134:135], -v[120:121]
	v_add_f64_e64 v[128:129], v[120:121], -v[134:135]
	v_add_f64_e32 v[252:253], v[122:123], v[148:149]
	v_add_f64_e64 v[140:141], v[136:137], -v[122:123]
	v_add_f64_e32 v[250:251], v[120:121], v[146:147]
	s_wait_dscnt 0x0
	v_add_f64_e32 v[188:189], v[160:161], v[184:185]
	v_add_f64_e64 v[182:183], v[186:187], -v[178:179]
	v_add_f64_e32 v[138:139], v[106:107], v[120:121]
	v_add_f64_e32 v[106:107], v[224:225], v[136:137]
	;; [unrolled: 1-line block ×3, first 2 shown]
	v_add_f64_e64 v[130:131], v[122:123], -v[136:137]
	v_add_f64_e64 v[112:113], v[120:121], -v[146:147]
	;; [unrolled: 1-line block ×4, first 2 shown]
	v_add_f64_e32 v[142:143], v[106:107], v[122:123]
	v_add_f64_e64 v[106:107], v[122:123], -v[148:149]
	v_add_f64_e64 v[122:123], v[134:135], -v[150:151]
	v_add_f64_e32 v[134:135], v[138:139], v[146:147]
	v_add_f64_e64 v[146:147], v[152:153], -v[148:149]
	v_add_f64_e64 v[138:139], v[148:149], -v[152:153]
	v_add_f64_e32 v[142:143], v[142:143], v[148:149]
	s_delay_alu instid0(VALU_DEP_4)
	v_add_f64_e32 v[8:9], v[134:135], v[150:151]
	v_add_f64_e32 v[134:135], v[226:227], v[160:161]
	ds_load_b128 v[148:151], v20 offset:32640
	global_wb scope:SCOPE_SE
	s_wait_storecnt_dscnt 0x0
	s_barrier_signal -1
	s_barrier_wait -1
	global_inv scope:SCOPE_SE
	v_add_f64_e32 v[158:159], v[148:149], v[176:177]
	v_add_f64_e64 v[156:157], v[160:161], -v[148:149]
	v_add_f64_e32 v[154:155], v[150:151], v[178:179]
	v_add_f64_e64 v[230:231], v[162:163], -v[150:151]
	v_add_f64_e64 v[98:99], v[150:151], -v[162:163]
	v_add_f64_e32 v[202:203], v[142:143], v[152:153]
	v_add_f64_e64 v[152:153], v[148:149], -v[160:161]
	v_add_f64_e64 v[142:143], v[148:149], -v[176:177]
	v_add_f64_e32 v[164:165], v[134:135], v[148:149]
	v_add_f64_e32 v[134:135], v[228:229], v[162:163]
	v_add_f64_e64 v[148:149], v[160:161], -v[184:185]
	v_add_f64_e32 v[160:161], v[162:163], v[186:187]
	s_delay_alu instid0(VALU_DEP_4) | instskip(NEXT) | instid1(VALU_DEP_4)
	v_add_f64_e32 v[210:211], v[164:165], v[176:177]
	v_add_f64_e32 v[180:181], v[134:135], v[150:151]
	v_add_f64_e64 v[134:135], v[150:151], -v[178:179]
	v_add_f64_e64 v[150:151], v[162:163], -v[186:187]
	;; [unrolled: 1-line block ×4, first 2 shown]
	v_add_f64_e32 v[212:213], v[180:181], v[178:179]
	v_add_f64_e64 v[180:181], v[184:185], -v[176:177]
	v_add_f64_e32 v[176:177], v[210:211], v[184:185]
	v_fma_f64 v[210:211], v[208:209], -0.5, v[4:5]
	v_fma_f64 v[208:209], v[216:217], -0.5, v[6:7]
	v_add_f64_e32 v[216:217], v[12:13], v[190:191]
	v_fma_f64 v[190:191], v[238:239], -0.5, v[172:173]
	v_fma_f64 v[238:239], v[240:241], -0.5, v[174:175]
	;; [unrolled: 1-line block ×8, first 2 shown]
	v_add_f64_e32 v[224:225], v[236:237], v[248:249]
	v_add_f64_e64 v[4:5], v[234:235], -v[246:247]
	v_add_f64_e64 v[6:7], v[236:237], -v[248:249]
	v_add_f64_e32 v[178:179], v[212:213], v[186:187]
	v_fma_f64 v[212:213], v[18:19], -0.5, v[2:3]
	v_add_f64_e64 v[18:19], v[14:15], -v[192:193]
	v_add_f64_e32 v[0:1], v[8:9], v[176:177]
	v_add_f64_e64 v[12:13], v[8:9], -v[176:177]
	v_mul_lo_u16 v8, v220, 10
	v_fma_f64 v[186:187], v[196:197], -0.5, v[168:169]
	v_fma_f64 v[196:197], v[232:233], -0.5, v[168:169]
	;; [unrolled: 1-line block ×3, first 2 shown]
	v_add_f64_e32 v[158:159], v[50:51], v[56:57]
	v_and_b32_e32 v8, 0xffff, v8
	v_fma_f64 v[38:39], v[32:33], s[18:19], v[210:211]
	v_fma_f64 v[192:193], v[244:245], -0.5, v[174:175]
	v_fma_f64 v[232:233], v[250:251], -0.5, v[222:223]
	;; [unrolled: 1-line block ×3, first 2 shown]
	v_lshlrev_b32_e32 v170, 4, v8
	ds_store_b128 v170, v[216:219]
	ds_store_b128 v170, v[16:19] offset:80
	scratch_load_b64 v[36:37], off, off offset:496 th:TH_LOAD_LU ; 8-byte Folded Reload
	v_fma_f64 v[16:17], v[44:45], s[16:17], v[206:207]
	v_fma_f64 v[18:19], v[40:41], s[18:19], v[21:22]
	v_add_f64_e32 v[8:9], v[48:49], v[54:55]
	v_fma_f64 v[21:22], v[40:41], s[16:17], v[21:22]
	v_add_f64_e32 v[222:223], v[234:235], v[246:247]
	v_add_f64_e32 v[2:3], v[202:203], v[178:179]
	v_add_f64_e64 v[14:15], v[202:203], -v[178:179]
	v_fma_f64 v[38:39], v[44:45], s[2:3], v[38:39]
	v_fma_f64 v[16:17], v[32:33], s[2:3], v[16:17]
	;; [unrolled: 1-line block ×4, first 2 shown]
	s_delay_alu instid0(VALU_DEP_3) | instskip(NEXT) | instid1(VALU_DEP_3)
	v_fma_f64 v[16:17], v[66:67], s[14:15], v[16:17]
	v_fma_f64 v[18:19], v[70:71], s[14:15], v[18:19]
	s_delay_alu instid0(VALU_DEP_3)
	v_fma_f64 v[21:22], v[70:71], s[14:15], v[21:22]
	v_add_f64_e32 v[70:71], v[80:81], v[86:87]
	v_add_f64_e32 v[80:81], v[82:83], v[88:89]
	;; [unrolled: 1-line block ×4, first 2 shown]
	v_mul_f64_e32 v[48:49], s[24:25], v[16:17]
	v_mul_f64_e32 v[16:17], s[12:13], v[16:17]
	s_delay_alu instid0(VALU_DEP_2) | instskip(NEXT) | instid1(VALU_DEP_2)
	v_fma_f64 v[48:49], v[18:19], s[2:3], v[48:49]
	v_fma_f64 v[50:51], v[18:19], s[24:25], v[16:17]
	;; [unrolled: 1-line block ×5, first 2 shown]
	s_delay_alu instid0(VALU_DEP_3) | instskip(NEXT) | instid1(VALU_DEP_3)
	v_fma_f64 v[18:19], v[26:27], s[12:13], v[18:19]
	v_fma_f64 v[16:17], v[24:25], s[2:3], v[16:17]
	s_delay_alu instid0(VALU_DEP_3) | instskip(NEXT) | instid1(VALU_DEP_3)
	v_fma_f64 v[10:11], v[26:27], s[2:3], v[10:11]
	v_fma_f64 v[56:57], v[158:159], s[14:15], v[18:19]
	s_delay_alu instid0(VALU_DEP_3) | instskip(NEXT) | instid1(VALU_DEP_3)
	v_fma_f64 v[54:55], v[8:9], s[14:15], v[16:17]
	v_fma_f64 v[10:11], v[158:159], s[14:15], v[10:11]
	s_delay_alu instid0(VALU_DEP_3) | instskip(SKIP_4) | instid1(VALU_DEP_3)
	v_add_f64_e32 v[18:19], v[56:57], v[50:51]
	v_add_f64_e64 v[50:51], v[56:57], -v[50:51]
	v_add_f64_e32 v[56:57], v[52:53], v[62:63]
	v_add_f64_e32 v[16:17], v[54:55], v[48:49]
	v_add_f64_e64 v[48:49], v[54:55], -v[48:49]
	v_fma_f64 v[38:39], v[56:57], s[14:15], v[38:39]
	s_wait_loadcnt 0x0
	v_add_f64_e32 v[42:43], v[36:37], v[42:43]
	v_fma_f64 v[36:37], v[34:35], s[16:17], v[208:209]
	s_delay_alu instid0(VALU_DEP_1) | instskip(NEXT) | instid1(VALU_DEP_1)
	v_fma_f64 v[36:37], v[40:41], s[12:13], v[36:37]
	v_fma_f64 v[36:37], v[58:59], s[14:15], v[36:37]
	s_delay_alu instid0(VALU_DEP_1) | instskip(NEXT) | instid1(VALU_DEP_1)
	v_mul_f64_e32 v[52:53], s[16:17], v[36:37]
	v_fma_f64 v[52:53], v[38:39], s[14:15], v[52:53]
	v_mul_f64_e32 v[38:39], s[18:19], v[38:39]
	s_delay_alu instid0(VALU_DEP_1) | instskip(SKIP_2) | instid1(VALU_DEP_2)
	v_fma_f64 v[54:55], v[36:37], s[14:15], v[38:39]
	v_fma_f64 v[36:37], v[24:25], s[18:19], v[214:215]
	;; [unrolled: 1-line block ×4, first 2 shown]
	s_delay_alu instid0(VALU_DEP_2) | instskip(NEXT) | instid1(VALU_DEP_2)
	v_fma_f64 v[38:39], v[30:31], s[12:13], v[38:39]
	v_fma_f64 v[62:63], v[42:43], s[14:15], v[36:37]
	s_delay_alu instid0(VALU_DEP_2) | instskip(NEXT) | instid1(VALU_DEP_2)
	v_fma_f64 v[64:65], v[46:47], s[14:15], v[38:39]
	v_add_f64_e32 v[36:37], v[62:63], v[52:53]
	v_add_f64_e64 v[52:53], v[62:63], -v[52:53]
	v_fma_f64 v[62:63], v[24:25], s[16:17], v[214:215]
	s_delay_alu instid0(VALU_DEP_4) | instskip(SKIP_1) | instid1(VALU_DEP_3)
	v_add_f64_e32 v[38:39], v[64:65], v[54:55]
	v_add_f64_e64 v[54:55], v[64:65], -v[54:55]
	v_fma_f64 v[62:63], v[28:29], s[12:13], v[62:63]
	v_fma_f64 v[28:29], v[28:29], s[18:19], v[200:201]
	s_delay_alu instid0(VALU_DEP_2) | instskip(SKIP_1) | instid1(VALU_DEP_3)
	v_fma_f64 v[42:43], v[42:43], s[14:15], v[62:63]
	v_fma_f64 v[62:63], v[26:27], s[18:19], v[212:213]
	;; [unrolled: 1-line block ×3, first 2 shown]
	s_delay_alu instid0(VALU_DEP_2) | instskip(NEXT) | instid1(VALU_DEP_2)
	v_fma_f64 v[62:63], v[30:31], s[2:3], v[62:63]
	v_fma_f64 v[8:9], v[8:9], s[14:15], v[23:24]
	s_delay_alu instid0(VALU_DEP_2) | instskip(SKIP_1) | instid1(VALU_DEP_1)
	v_fma_f64 v[46:47], v[46:47], s[14:15], v[62:63]
	v_fma_f64 v[62:63], v[32:33], s[16:17], v[210:211]
	;; [unrolled: 1-line block ×3, first 2 shown]
	s_delay_alu instid0(VALU_DEP_1) | instskip(SKIP_1) | instid1(VALU_DEP_1)
	v_fma_f64 v[56:57], v[56:57], s[14:15], v[62:63]
	v_fma_f64 v[62:63], v[34:35], s[18:19], v[208:209]
	;; [unrolled: 1-line block ×3, first 2 shown]
	s_delay_alu instid0(VALU_DEP_1) | instskip(NEXT) | instid1(VALU_DEP_4)
	v_fma_f64 v[58:59], v[58:59], s[14:15], v[62:63]
	v_mul_f64_e32 v[62:63], s[20:21], v[56:57]
	s_delay_alu instid0(VALU_DEP_1) | instskip(SKIP_1) | instid1(VALU_DEP_1)
	v_fma_f64 v[62:63], v[58:59], s[16:17], v[62:63]
	v_mul_f64_e32 v[58:59], s[20:21], v[58:59]
	v_fma_f64 v[64:65], v[56:57], s[18:19], v[58:59]
	s_delay_alu instid0(VALU_DEP_3) | instskip(SKIP_2) | instid1(VALU_DEP_4)
	v_add_f64_e32 v[56:57], v[42:43], v[62:63]
	v_add_f64_e64 v[62:63], v[42:43], -v[62:63]
	v_fma_f64 v[42:43], v[44:45], s[18:19], v[206:207]
	v_add_f64_e32 v[58:59], v[46:47], v[64:65]
	v_add_f64_e64 v[64:65], v[46:47], -v[64:65]
	s_delay_alu instid0(VALU_DEP_3) | instskip(SKIP_3) | instid1(VALU_DEP_4)
	v_fma_f64 v[30:31], v[32:33], s[12:13], v[42:43]
	v_add_f64_e32 v[33:34], v[110:111], v[124:125]
	v_add_f64_e32 v[110:111], v[98:99], v[164:165]
	v_fma_f64 v[98:99], v[134:135], s[18:19], v[174:175]
	v_fma_f64 v[25:26], v[66:67], s[14:15], v[30:31]
	;; [unrolled: 1-line block ×3, first 2 shown]
	v_add_f64_e32 v[66:67], v[118:119], v[126:127]
	s_delay_alu instid0(VALU_DEP_4) | instskip(SKIP_3) | instid1(VALU_DEP_2)
	v_fma_f64 v[98:99], v[150:151], s[2:3], v[98:99]
	v_fma_f64 v[118:119], v[122:123], s[16:17], v[240:241]
	v_mul_f64_e32 v[23:24], s[22:23], v[25:26]
	v_fma_f64 v[31:32], v[94:95], s[12:13], v[31:32]
	v_fma_f64 v[27:28], v[21:22], s[2:3], v[23:24]
	v_mul_f64_e32 v[21:22], s[22:23], v[21:22]
	s_delay_alu instid0(VALU_DEP_3) | instskip(NEXT) | instid1(VALU_DEP_2)
	v_fma_f64 v[31:32], v[66:67], s[14:15], v[31:32]
	v_fma_f64 v[29:30], v[25:26], s[12:13], v[21:22]
	s_delay_alu instid0(VALU_DEP_4)
	v_add_f64_e32 v[21:22], v[8:9], v[27:28]
	v_add_f64_e64 v[25:26], v[8:9], -v[27:28]
	v_add_f64_e32 v[8:9], v[84:85], v[96:97]
	v_add_f64_e32 v[84:85], v[108:109], v[116:117]
	;; [unrolled: 1-line block ×3, first 2 shown]
	v_add_co_u32 v153, null, 0x78, v221
	v_add_co_u32 v152, null, 0xf0, v221
	v_add_f64_e32 v[23:24], v[10:11], v[29:30]
	v_add_f64_e64 v[27:28], v[10:11], -v[29:30]
	v_fma_f64 v[29:30], v[102:103], s[16:17], v[190:191]
	v_add_f64_e32 v[10:11], v[92:93], v[76:77]
	ds_store_b128 v170, v[16:19] offset:16
	ds_store_b128 v170, v[36:39] offset:32
	;; [unrolled: 1-line block ×8, first 2 shown]
	v_fma_f64 v[98:99], v[108:109], s[14:15], v[98:99]
	v_fma_f64 v[29:30], v[90:91], s[2:3], v[29:30]
	s_delay_alu instid0(VALU_DEP_1) | instskip(NEXT) | instid1(VALU_DEP_1)
	v_fma_f64 v[29:30], v[33:34], s[14:15], v[29:30]
	v_mul_f64_e32 v[40:41], s[24:25], v[29:30]
	v_mul_f64_e32 v[29:30], s[12:13], v[29:30]
	s_delay_alu instid0(VALU_DEP_2) | instskip(NEXT) | instid1(VALU_DEP_2)
	v_fma_f64 v[40:41], v[31:32], s[2:3], v[40:41]
	v_fma_f64 v[42:43], v[31:32], s[24:25], v[29:30]
	;; [unrolled: 1-line block ×4, first 2 shown]
	s_delay_alu instid0(VALU_DEP_2) | instskip(NEXT) | instid1(VALU_DEP_2)
	v_fma_f64 v[29:30], v[60:61], s[2:3], v[29:30]
	v_fma_f64 v[31:32], v[68:69], s[12:13], v[31:32]
	s_delay_alu instid0(VALU_DEP_2) | instskip(NEXT) | instid1(VALU_DEP_2)
	v_fma_f64 v[44:45], v[8:9], s[14:15], v[29:30]
	v_fma_f64 v[46:47], v[10:11], s[14:15], v[31:32]
	s_delay_alu instid0(VALU_DEP_2) | instskip(SKIP_2) | instid1(VALU_DEP_4)
	v_add_f64_e32 v[29:30], v[44:45], v[40:41]
	v_add_f64_e64 v[40:41], v[44:45], -v[40:41]
	v_fma_f64 v[44:45], v[94:95], s[16:17], v[192:193]
	v_add_f64_e32 v[31:32], v[46:47], v[42:43]
	v_add_f64_e64 v[42:43], v[46:47], -v[42:43]
	v_fma_f64 v[46:47], v[90:91], s[18:19], v[194:195]
	s_delay_alu instid0(VALU_DEP_4) | instskip(NEXT) | instid1(VALU_DEP_2)
	v_fma_f64 v[44:45], v[100:101], s[12:13], v[44:45]
	v_fma_f64 v[46:47], v[102:103], s[2:3], v[46:47]
	s_delay_alu instid0(VALU_DEP_2) | instskip(NEXT) | instid1(VALU_DEP_2)
	v_fma_f64 v[44:45], v[84:85], s[14:15], v[44:45]
	v_fma_f64 v[46:47], v[82:83], s[14:15], v[46:47]
	s_delay_alu instid0(VALU_DEP_2) | instskip(NEXT) | instid1(VALU_DEP_1)
	v_mul_f64_e32 v[76:77], s[16:17], v[44:45]
	v_fma_f64 v[76:77], v[46:47], s[14:15], v[76:77]
	v_mul_f64_e32 v[46:47], s[18:19], v[46:47]
	s_delay_alu instid0(VALU_DEP_1) | instskip(SKIP_2) | instid1(VALU_DEP_2)
	v_fma_f64 v[78:79], v[44:45], s[14:15], v[46:47]
	v_fma_f64 v[44:45], v[60:61], s[18:19], v[198:199]
	;; [unrolled: 1-line block ×4, first 2 shown]
	s_delay_alu instid0(VALU_DEP_2) | instskip(NEXT) | instid1(VALU_DEP_2)
	v_fma_f64 v[46:47], v[74:75], s[12:13], v[46:47]
	v_fma_f64 v[86:87], v[70:71], s[14:15], v[44:45]
	s_delay_alu instid0(VALU_DEP_2) | instskip(NEXT) | instid1(VALU_DEP_2)
	v_fma_f64 v[88:89], v[80:81], s[14:15], v[46:47]
	v_add_f64_e32 v[44:45], v[86:87], v[76:77]
	v_add_f64_e64 v[76:77], v[86:87], -v[76:77]
	v_fma_f64 v[86:87], v[60:61], s[16:17], v[198:199]
	s_delay_alu instid0(VALU_DEP_4) | instskip(SKIP_1) | instid1(VALU_DEP_3)
	v_add_f64_e32 v[46:47], v[88:89], v[78:79]
	v_add_f64_e64 v[78:79], v[88:89], -v[78:79]
	v_fma_f64 v[86:87], v[72:73], s[12:13], v[86:87]
	v_fma_f64 v[72:73], v[72:73], s[18:19], v[184:185]
	s_delay_alu instid0(VALU_DEP_2) | instskip(SKIP_1) | instid1(VALU_DEP_3)
	v_fma_f64 v[70:71], v[70:71], s[14:15], v[86:87]
	v_fma_f64 v[86:87], v[68:69], s[18:19], v[196:197]
	;; [unrolled: 1-line block ×3, first 2 shown]
	s_delay_alu instid0(VALU_DEP_2) | instskip(SKIP_1) | instid1(VALU_DEP_3)
	v_fma_f64 v[86:87], v[74:75], s[2:3], v[86:87]
	v_fma_f64 v[74:75], v[74:75], s[16:17], v[186:187]
	v_fma_f64 v[8:9], v[8:9], s[14:15], v[60:61]
	s_delay_alu instid0(VALU_DEP_3) | instskip(SKIP_1) | instid1(VALU_DEP_4)
	v_fma_f64 v[86:87], v[80:81], s[14:15], v[86:87]
	v_fma_f64 v[80:81], v[90:91], s[16:17], v[194:195]
	;; [unrolled: 1-line block ×4, first 2 shown]
	s_delay_alu instid0(VALU_DEP_3) | instskip(NEXT) | instid1(VALU_DEP_3)
	v_fma_f64 v[80:81], v[102:103], s[12:13], v[80:81]
	v_fma_f64 v[10:11], v[10:11], s[14:15], v[68:69]
	s_delay_alu instid0(VALU_DEP_3) | instskip(NEXT) | instid1(VALU_DEP_3)
	v_fma_f64 v[74:75], v[134:135], s[2:3], v[74:75]
	v_fma_f64 v[80:81], v[82:83], s[14:15], v[80:81]
	;; [unrolled: 1-line block ×3, first 2 shown]
	s_delay_alu instid0(VALU_DEP_1) | instskip(NEXT) | instid1(VALU_DEP_1)
	v_fma_f64 v[82:83], v[100:101], s[2:3], v[82:83]
	v_fma_f64 v[82:83], v[84:85], s[14:15], v[82:83]
	s_delay_alu instid0(VALU_DEP_4) | instskip(NEXT) | instid1(VALU_DEP_1)
	v_mul_f64_e32 v[84:85], s[20:21], v[80:81]
	v_fma_f64 v[84:85], v[82:83], s[16:17], v[84:85]
	v_mul_f64_e32 v[82:83], s[20:21], v[82:83]
	s_delay_alu instid0(VALU_DEP_1) | instskip(NEXT) | instid1(VALU_DEP_3)
	v_fma_f64 v[88:89], v[80:81], s[18:19], v[82:83]
	v_add_f64_e32 v[80:81], v[70:71], v[84:85]
	v_add_f64_e64 v[84:85], v[70:71], -v[84:85]
	v_fma_f64 v[70:71], v[102:103], s[18:19], v[190:191]
	s_delay_alu instid0(VALU_DEP_4) | instskip(SKIP_2) | instid1(VALU_DEP_4)
	v_add_f64_e32 v[82:83], v[86:87], v[88:89]
	v_add_f64_e64 v[86:87], v[86:87], -v[88:89]
	v_fma_f64 v[88:89], v[100:101], s[16:17], v[238:239]
	v_fma_f64 v[70:71], v[90:91], s[12:13], v[70:71]
	s_delay_alu instid0(VALU_DEP_2) | instskip(NEXT) | instid1(VALU_DEP_2)
	v_fma_f64 v[72:73], v[94:95], s[2:3], v[88:89]
	v_fma_f64 v[33:34], v[33:34], s[14:15], v[70:71]
	;; [unrolled: 1-line block ×3, first 2 shown]
	s_delay_alu instid0(VALU_DEP_3) | instskip(NEXT) | instid1(VALU_DEP_3)
	v_fma_f64 v[60:61], v[66:67], s[14:15], v[72:73]
	v_mul_f64_e32 v[66:67], s[22:23], v[33:34]
	s_delay_alu instid0(VALU_DEP_3) | instskip(NEXT) | instid1(VALU_DEP_2)
	v_fma_f64 v[88:89], v[142:143], s[12:13], v[88:89]
	v_fma_f64 v[70:71], v[60:61], s[2:3], v[66:67]
	v_mul_f64_e32 v[60:61], s[22:23], v[60:61]
	s_delay_alu instid0(VALU_DEP_2) | instskip(NEXT) | instid1(VALU_DEP_2)
	v_add_f64_e32 v[66:67], v[8:9], v[70:71]
	v_fma_f64 v[33:34], v[33:34], s[12:13], v[60:61]
	v_add_f64_e32 v[60:61], v[230:231], v[182:183]
	v_add_f64_e64 v[70:71], v[8:9], -v[70:71]
	v_add_f64_e32 v[8:9], v[132:133], v[144:145]
	s_delay_alu instid0(VALU_DEP_4)
	v_add_f64_e32 v[68:69], v[10:11], v[33:34]
	v_add_f64_e64 v[72:73], v[10:11], -v[33:34]
	v_add_f64_e32 v[33:34], v[156:157], v[180:181]
	v_fma_f64 v[88:89], v[60:61], s[14:15], v[88:89]
	v_add_f64_e32 v[10:11], v[140:141], v[146:147]
	v_and_b32_e32 v156, 0xff, v153
	s_delay_alu instid0(VALU_DEP_4) | instskip(NEXT) | instid1(VALU_DEP_1)
	v_fma_f64 v[74:75], v[33:34], s[14:15], v[74:75]
	v_mul_f64_e32 v[90:91], s[24:25], v[74:75]
	v_mul_f64_e32 v[74:75], s[12:13], v[74:75]
	s_delay_alu instid0(VALU_DEP_2) | instskip(NEXT) | instid1(VALU_DEP_2)
	v_fma_f64 v[92:93], v[88:89], s[2:3], v[90:91]
	v_fma_f64 v[74:75], v[88:89], s[24:25], v[74:75]
	;; [unrolled: 1-line block ×4, first 2 shown]
	s_delay_alu instid0(VALU_DEP_2) | instskip(NEXT) | instid1(VALU_DEP_2)
	v_fma_f64 v[88:89], v[106:107], s[2:3], v[88:89]
	v_fma_f64 v[90:91], v[112:113], s[12:13], v[90:91]
	s_delay_alu instid0(VALU_DEP_2) | instskip(NEXT) | instid1(VALU_DEP_2)
	v_fma_f64 v[94:95], v[8:9], s[14:15], v[88:89]
	v_fma_f64 v[96:97], v[10:11], s[14:15], v[90:91]
	s_delay_alu instid0(VALU_DEP_2) | instskip(NEXT) | instid1(VALU_DEP_2)
	v_add_f64_e32 v[88:89], v[94:95], v[92:93]
	v_add_f64_e32 v[90:91], v[96:97], v[74:75]
	v_add_f64_e64 v[92:93], v[94:95], -v[92:93]
	v_add_f64_e64 v[94:95], v[96:97], -v[74:75]
	v_fma_f64 v[96:97], v[142:143], s[16:17], v[172:173]
	v_add_f64_e32 v[74:75], v[128:129], v[136:137]
	s_delay_alu instid0(VALU_DEP_2) | instskip(NEXT) | instid1(VALU_DEP_1)
	v_fma_f64 v[96:97], v[148:149], s[12:13], v[96:97]
	v_fma_f64 v[96:97], v[110:111], s[14:15], v[96:97]
	s_delay_alu instid0(VALU_DEP_1) | instskip(NEXT) | instid1(VALU_DEP_1)
	v_mul_f64_e32 v[100:101], s[16:17], v[96:97]
	v_fma_f64 v[100:101], v[98:99], s[14:15], v[100:101]
	v_mul_f64_e32 v[98:99], s[18:19], v[98:99]
	s_delay_alu instid0(VALU_DEP_1) | instskip(SKIP_2) | instid1(VALU_DEP_2)
	v_fma_f64 v[102:103], v[96:97], s[14:15], v[98:99]
	v_fma_f64 v[96:97], v[106:107], s[18:19], v[242:243]
	;; [unrolled: 1-line block ×4, first 2 shown]
	s_delay_alu instid0(VALU_DEP_2) | instskip(NEXT) | instid1(VALU_DEP_2)
	v_fma_f64 v[98:99], v[122:123], s[12:13], v[98:99]
	v_fma_f64 v[114:115], v[74:75], s[14:15], v[96:97]
	s_delay_alu instid0(VALU_DEP_2) | instskip(NEXT) | instid1(VALU_DEP_2)
	v_fma_f64 v[116:117], v[104:105], s[14:15], v[98:99]
	v_add_f64_e32 v[96:97], v[114:115], v[100:101]
	v_add_f64_e64 v[100:101], v[114:115], -v[100:101]
	v_fma_f64 v[114:115], v[106:107], s[16:17], v[242:243]
	s_delay_alu instid0(VALU_DEP_4) | instskip(SKIP_1) | instid1(VALU_DEP_3)
	v_add_f64_e32 v[98:99], v[116:117], v[102:103]
	v_add_f64_e64 v[102:103], v[116:117], -v[102:103]
	v_fma_f64 v[114:115], v[120:121], s[12:13], v[114:115]
	s_delay_alu instid0(VALU_DEP_1) | instskip(SKIP_1) | instid1(VALU_DEP_1)
	v_fma_f64 v[74:75], v[74:75], s[14:15], v[114:115]
	v_fma_f64 v[114:115], v[112:113], s[18:19], v[204:205]
	v_fma_f64 v[114:115], v[122:123], s[2:3], v[114:115]
	s_delay_alu instid0(VALU_DEP_1) | instskip(SKIP_1) | instid1(VALU_DEP_1)
	v_fma_f64 v[104:105], v[104:105], s[14:15], v[114:115]
	v_fma_f64 v[114:115], v[134:135], s[16:17], v[174:175]
	;; [unrolled: 4-line block ×3, first 2 shown]
	v_fma_f64 v[114:115], v[148:149], s[2:3], v[114:115]
	s_delay_alu instid0(VALU_DEP_1) | instskip(NEXT) | instid1(VALU_DEP_4)
	v_fma_f64 v[110:111], v[110:111], s[14:15], v[114:115]
	v_mul_f64_e32 v[114:115], s[20:21], v[108:109]
	s_delay_alu instid0(VALU_DEP_1) | instskip(SKIP_1) | instid1(VALU_DEP_1)
	v_fma_f64 v[114:115], v[110:111], s[16:17], v[114:115]
	v_mul_f64_e32 v[110:111], s[20:21], v[110:111]
	v_fma_f64 v[116:117], v[108:109], s[18:19], v[110:111]
	s_delay_alu instid0(VALU_DEP_3) | instskip(SKIP_2) | instid1(VALU_DEP_4)
	v_add_f64_e32 v[108:109], v[74:75], v[114:115]
	v_add_f64_e64 v[114:115], v[74:75], -v[114:115]
	v_fma_f64 v[74:75], v[150:151], s[18:19], v[168:169]
	v_add_f64_e32 v[110:111], v[104:105], v[116:117]
	v_add_f64_e64 v[116:117], v[104:105], -v[116:117]
	v_fma_f64 v[104:105], v[120:121], s[18:19], v[232:233]
	v_fma_f64 v[120:121], v[148:149], s[16:17], v[166:167]
	;; [unrolled: 1-line block ×3, first 2 shown]
	s_delay_alu instid0(VALU_DEP_3) | instskip(SKIP_1) | instid1(VALU_DEP_4)
	v_fma_f64 v[104:105], v[106:107], s[12:13], v[104:105]
	v_fma_f64 v[106:107], v[112:113], s[2:3], v[118:119]
	;; [unrolled: 1-line block ×3, first 2 shown]
	s_delay_alu instid0(VALU_DEP_4) | instskip(NEXT) | instid1(VALU_DEP_4)
	v_fma_f64 v[33:34], v[33:34], s[14:15], v[74:75]
	v_fma_f64 v[8:9], v[8:9], s[14:15], v[104:105]
	s_delay_alu instid0(VALU_DEP_4) | instskip(NEXT) | instid1(VALU_DEP_4)
	v_fma_f64 v[10:11], v[10:11], s[14:15], v[106:107]
	v_fma_f64 v[60:61], v[60:61], s[14:15], v[112:113]
	s_delay_alu instid0(VALU_DEP_4) | instskip(NEXT) | instid1(VALU_DEP_1)
	v_mul_f64_e32 v[74:75], s[22:23], v[33:34]
	v_fma_f64 v[74:75], v[60:61], s[2:3], v[74:75]
	v_mul_f64_e32 v[60:61], s[22:23], v[60:61]
	s_delay_alu instid0(VALU_DEP_2) | instskip(NEXT) | instid1(VALU_DEP_2)
	v_add_f64_e32 v[104:105], v[8:9], v[74:75]
	v_fma_f64 v[33:34], v[33:34], s[12:13], v[60:61]
	v_add_f64_e64 v[118:119], v[8:9], -v[74:75]
	v_mul_u32_u24_e32 v8, 10, v153
	s_delay_alu instid0(VALU_DEP_1)
	v_lshlrev_b32_e32 v209, 4, v8
	ds_store_b128 v209, v[222:225]
	ds_store_b128 v209, v[29:32] offset:16
	ds_store_b128 v209, v[44:47] offset:32
	;; [unrolled: 1-line block ×9, first 2 shown]
	v_mul_u32_u24_e32 v4, 10, v152
	s_delay_alu instid0(VALU_DEP_1)
	v_lshlrev_b32_e32 v204, 4, v4
	v_add_f64_e32 v[106:107], v[10:11], v[33:34]
	v_add_f64_e64 v[120:121], v[10:11], -v[33:34]
	ds_store_b128 v204, v[0:3]
	ds_store_b128 v204, v[88:91] offset:16
	ds_store_b128 v204, v[96:99] offset:32
	;; [unrolled: 1-line block ×9, first 2 shown]
	v_and_b32_e32 v0, 0xff, v220
	global_wb scope:SCOPE_SE
	s_wait_dscnt 0x0
	s_barrier_signal -1
	s_barrier_wait -1
	global_inv scope:SCOPE_SE
	v_mul_lo_u16 v0, 0xcd, v0
	s_delay_alu instid0(VALU_DEP_1) | instskip(NEXT) | instid1(VALU_DEP_1)
	v_lshrrev_b16 v21, 11, v0
	v_mul_lo_u16 v0, v21, 10
	v_and_b32_e32 v21, 0xffff, v21
	s_delay_alu instid0(VALU_DEP_2) | instskip(NEXT) | instid1(VALU_DEP_2)
	v_sub_nc_u16 v0, v220, v0
	v_mul_u32_u24_e32 v21, 0x64, v21
	s_delay_alu instid0(VALU_DEP_2)
	v_and_b32_e32 v161, 0xff, v0
	ds_load_b128 v[0:3], v20 offset:5760
	v_mad_co_u64_u32 v[4:5], null, 0x90, v161, s[10:11]
	v_add_lshl_u32 v208, v21, v161, 4
	global_load_b128 v[8:11], v[4:5], off
	s_wait_loadcnt_dscnt 0x0
	v_mul_f64_e32 v[6:7], v[2:3], v[10:11]
	scratch_store_b128 off, v[8:11], off offset:496 ; 16-byte Folded Spill
	v_fma_f64 v[28:29], v[0:1], v[8:9], -v[6:7]
	v_mul_f64_e32 v[0:1], v[0:1], v[10:11]
	s_delay_alu instid0(VALU_DEP_1)
	v_fma_f64 v[30:31], v[2:3], v[8:9], v[0:1]
	global_load_b128 v[8:11], v[4:5], off offset:16
	ds_load_b128 v[0:3], v20 offset:11520
	s_wait_loadcnt_dscnt 0x0
	v_mul_f64_e32 v[6:7], v[2:3], v[10:11]
	scratch_store_b128 off, v[8:11], off offset:512 ; 16-byte Folded Spill
	v_fma_f64 v[36:37], v[0:1], v[8:9], -v[6:7]
	v_mul_f64_e32 v[0:1], v[0:1], v[10:11]
	s_delay_alu instid0(VALU_DEP_1)
	v_fma_f64 v[38:39], v[2:3], v[8:9], v[0:1]
	global_load_b128 v[8:11], v[4:5], off offset:32
	ds_load_b128 v[0:3], v20 offset:17280
	;; [unrolled: 9-line block ×5, first 2 shown]
	s_wait_loadcnt_dscnt 0x0
	v_mul_f64_e32 v[6:7], v[2:3], v[10:11]
	scratch_store_b128 off, v[8:11], off offset:576 ; 16-byte Folded Spill
	v_fma_f64 v[72:73], v[0:1], v[8:9], -v[6:7]
	v_mul_f64_e32 v[0:1], v[0:1], v[10:11]
	s_delay_alu instid0(VALU_DEP_2) | instskip(NEXT) | instid1(VALU_DEP_2)
	v_add_f64_e64 v[198:199], v[56:57], -v[72:73]
	v_fma_f64 v[74:75], v[2:3], v[8:9], v[0:1]
	global_load_b128 v[8:11], v[4:5], off offset:96
	ds_load_b128 v[0:3], v20 offset:40320
	v_add_f64_e64 v[194:195], v[58:59], -v[74:75]
	s_wait_loadcnt_dscnt 0x0
	v_mul_f64_e32 v[6:7], v[2:3], v[10:11]
	scratch_store_b128 off, v[8:11], off offset:592 ; 16-byte Folded Spill
	v_fma_f64 v[78:79], v[0:1], v[8:9], -v[6:7]
	v_mul_f64_e32 v[0:1], v[0:1], v[10:11]
	s_delay_alu instid0(VALU_DEP_2) | instskip(NEXT) | instid1(VALU_DEP_2)
	v_add_f64_e64 v[186:187], v[62:63], -v[78:79]
	v_fma_f64 v[76:77], v[2:3], v[8:9], v[0:1]
	global_load_b128 v[8:11], v[4:5], off offset:112
	ds_load_b128 v[0:3], v20 offset:46080
	v_add_f64_e64 v[190:191], v[60:61], -v[76:77]
	s_wait_loadcnt_dscnt 0x0
	v_mul_f64_e32 v[6:7], v[2:3], v[10:11]
	scratch_store_b128 off, v[8:11], off offset:608 ; 16-byte Folded Spill
	v_fma_f64 v[88:89], v[0:1], v[8:9], -v[6:7]
	v_mul_f64_e32 v[0:1], v[0:1], v[10:11]
	s_delay_alu instid0(VALU_DEP_2) | instskip(NEXT) | instid1(VALU_DEP_2)
	v_add_f64_e64 v[196:197], v[36:37], -v[88:89]
	v_fma_f64 v[90:91], v[2:3], v[8:9], v[0:1]
	global_load_b128 v[6:9], v[4:5], off offset:128
	ds_load_b128 v[0:3], v20 offset:51840
	v_add_f64_e64 v[192:193], v[38:39], -v[90:91]
	s_wait_loadcnt_dscnt 0x0
	v_mul_f64_e32 v[4:5], v[2:3], v[8:9]
	scratch_store_b128 off, v[6:9], off offset:624 ; 16-byte Folded Spill
	v_fma_f64 v[94:95], v[0:1], v[6:7], -v[4:5]
	v_mul_f64_e32 v[0:1], v[0:1], v[8:9]
	s_delay_alu instid0(VALU_DEP_2) | instskip(NEXT) | instid1(VALU_DEP_2)
	v_add_f64_e64 v[184:185], v[42:43], -v[94:95]
	v_fma_f64 v[92:93], v[2:3], v[6:7], v[0:1]
	v_mul_lo_u16 v0, 0xcd, v156
	s_delay_alu instid0(VALU_DEP_1) | instskip(NEXT) | instid1(VALU_DEP_1)
	v_lshrrev_b16 v157, 11, v0
	v_mul_lo_u16 v0, v157, 10
	s_delay_alu instid0(VALU_DEP_1) | instskip(NEXT) | instid1(VALU_DEP_1)
	v_sub_nc_u16 v0, v153, v0
	v_and_b32_e32 v158, 0xff, v0
	ds_load_b128 v[0:3], v20 offset:7680
	v_mad_co_u64_u32 v[4:5], null, 0x90, v158, s[10:11]
	global_load_b128 v[8:11], v[4:5], off
	v_add_f64_e64 v[188:189], v[40:41], -v[92:93]
	s_wait_loadcnt_dscnt 0x0
	v_mul_f64_e32 v[6:7], v[2:3], v[10:11]
	scratch_store_b128 off, v[8:11], off offset:640 ; 16-byte Folded Spill
	v_fma_f64 v[16:17], v[0:1], v[8:9], -v[6:7]
	v_mul_f64_e32 v[0:1], v[0:1], v[10:11]
	s_delay_alu instid0(VALU_DEP_1)
	v_fma_f64 v[18:19], v[2:3], v[8:9], v[0:1]
	global_load_b128 v[8:11], v[4:5], off offset:16
	ds_load_b128 v[0:3], v20 offset:13440
	s_wait_loadcnt_dscnt 0x0
	v_mul_f64_e32 v[6:7], v[2:3], v[10:11]
	scratch_store_b128 off, v[8:11], off offset:656 ; 16-byte Folded Spill
	v_fma_f64 v[148:149], v[0:1], v[8:9], -v[6:7]
	v_mul_f64_e32 v[0:1], v[0:1], v[10:11]
	s_delay_alu instid0(VALU_DEP_1)
	v_fma_f64 v[22:23], v[2:3], v[8:9], v[0:1]
	global_load_b128 v[8:11], v[4:5], off offset:32
	ds_load_b128 v[0:3], v20 offset:19200
	;; [unrolled: 9-line block ×8, first 2 shown]
	s_wait_loadcnt_dscnt 0x0
	v_mul_f64_e32 v[4:5], v[2:3], v[8:9]
	scratch_store_b128 off, v[6:9], off offset:768 ; 16-byte Folded Spill
	v_fma_f64 v[106:107], v[0:1], v[6:7], -v[4:5]
	v_mul_f64_e32 v[0:1], v[0:1], v[8:9]
	s_delay_alu instid0(VALU_DEP_1) | instskip(SKIP_1) | instid1(VALU_DEP_1)
	v_fma_f64 v[104:105], v[2:3], v[6:7], v[0:1]
	v_and_b32_e32 v0, 0xffff, v152
	v_mul_u32_u24_e32 v0, 0xcccd, v0
	s_delay_alu instid0(VALU_DEP_1) | instskip(NEXT) | instid1(VALU_DEP_1)
	v_lshrrev_b32_e32 v159, 19, v0
	v_mul_lo_u16 v0, v159, 10
	s_delay_alu instid0(VALU_DEP_1) | instskip(NEXT) | instid1(VALU_DEP_1)
	v_sub_nc_u16 v160, v152, v0
	v_mul_lo_u16 v0, 0x90, v160
	s_delay_alu instid0(VALU_DEP_1) | instskip(NEXT) | instid1(VALU_DEP_1)
	v_and_b32_e32 v0, 0xffff, v0
	v_add_co_u32 v4, s26, s10, v0
	s_delay_alu instid0(VALU_DEP_1)
	v_add_co_ci_u32_e64 v5, null, s11, 0, s26
	ds_load_b128 v[0:3], v20 offset:9600
	global_load_b128 v[8:11], v[4:5], off
	s_wait_loadcnt_dscnt 0x0
	v_mul_f64_e32 v[6:7], v[2:3], v[10:11]
	scratch_store_b128 off, v[8:11], off offset:784 ; 16-byte Folded Spill
	v_fma_f64 v[32:33], v[0:1], v[8:9], -v[6:7]
	v_mul_f64_e32 v[0:1], v[0:1], v[10:11]
	s_delay_alu instid0(VALU_DEP_1)
	v_fma_f64 v[34:35], v[2:3], v[8:9], v[0:1]
	global_load_b128 v[8:11], v[4:5], off offset:16
	ds_load_b128 v[0:3], v20 offset:15360
	s_wait_loadcnt_dscnt 0x0
	v_mul_f64_e32 v[6:7], v[2:3], v[10:11]
	scratch_store_b128 off, v[8:11], off offset:800 ; 16-byte Folded Spill
	v_fma_f64 v[48:49], v[0:1], v[8:9], -v[6:7]
	v_mul_f64_e32 v[0:1], v[0:1], v[10:11]
	s_delay_alu instid0(VALU_DEP_1)
	v_fma_f64 v[50:51], v[2:3], v[8:9], v[0:1]
	global_load_b128 v[8:11], v[4:5], off offset:32
	ds_load_b128 v[0:3], v20 offset:21120
	;; [unrolled: 9-line block ×3, first 2 shown]
	v_add_f64_e32 v[14:15], v[34:35], v[52:53]
	s_wait_loadcnt_dscnt 0x0
	v_mul_f64_e32 v[6:7], v[2:3], v[10:11]
	scratch_store_b128 off, v[8:11], off offset:832 ; 16-byte Folded Spill
	v_fma_f64 v[64:65], v[0:1], v[8:9], -v[6:7]
	v_mul_f64_e32 v[0:1], v[0:1], v[10:11]
	s_delay_alu instid0(VALU_DEP_1)
	v_fma_f64 v[66:67], v[2:3], v[8:9], v[0:1]
	global_load_b128 v[8:11], v[4:5], off offset:64
	ds_load_b128 v[0:3], v20 offset:32640
	s_wait_loadcnt_dscnt 0x0
	v_mul_f64_e32 v[6:7], v[2:3], v[10:11]
	scratch_store_b128 off, v[8:11], off offset:848 ; 16-byte Folded Spill
	v_fma_f64 v[102:103], v[0:1], v[8:9], -v[6:7]
	v_mul_f64_e32 v[0:1], v[0:1], v[10:11]
	s_delay_alu instid0(VALU_DEP_1)
	v_fma_f64 v[100:101], v[2:3], v[8:9], v[0:1]
	global_load_b128 v[8:11], v[4:5], off offset:80
	ds_load_b128 v[0:3], v20 offset:38400
	v_add_f64_e32 v[14:15], v[14:15], v[100:101]
	s_wait_loadcnt_dscnt 0x0
	v_mul_f64_e32 v[6:7], v[2:3], v[10:11]
	scratch_store_b128 off, v[8:11], off offset:864 ; 16-byte Folded Spill
	v_fma_f64 v[108:109], v[0:1], v[8:9], -v[6:7]
	v_mul_f64_e32 v[0:1], v[0:1], v[10:11]
	s_delay_alu instid0(VALU_DEP_2) | instskip(NEXT) | instid1(VALU_DEP_2)
	v_add_f64_e32 v[12:13], v[64:65], v[108:109]
	v_fma_f64 v[110:111], v[2:3], v[8:9], v[0:1]
	global_load_b128 v[8:11], v[4:5], off offset:96
	ds_load_b128 v[0:3], v20 offset:44160
	s_wait_loadcnt_dscnt 0x0
	v_mul_f64_e32 v[6:7], v[2:3], v[10:11]
	scratch_store_b128 off, v[8:11], off offset:880 ; 16-byte Folded Spill
	v_fma_f64 v[114:115], v[0:1], v[8:9], -v[6:7]
	v_mul_f64_e32 v[0:1], v[0:1], v[10:11]
	s_delay_alu instid0(VALU_DEP_1)
	v_fma_f64 v[112:113], v[2:3], v[8:9], v[0:1]
	global_load_b128 v[8:11], v[4:5], off offset:112
	ds_load_b128 v[0:3], v20 offset:49920
	v_add_f64_e32 v[14:15], v[14:15], v[112:113]
	s_wait_loadcnt_dscnt 0x0
	v_mul_f64_e32 v[6:7], v[2:3], v[10:11]
	scratch_store_b128 off, v[8:11], off offset:896 ; 16-byte Folded Spill
	v_fma_f64 v[116:117], v[0:1], v[8:9], -v[6:7]
	v_mul_f64_e32 v[0:1], v[0:1], v[10:11]
	s_delay_alu instid0(VALU_DEP_1)
	v_fma_f64 v[118:119], v[2:3], v[8:9], v[0:1]
	global_load_b128 v[6:9], v[4:5], off offset:128
	ds_load_b128 v[0:3], v20 offset:55680
	s_wait_loadcnt_dscnt 0x0
	v_mul_f64_e32 v[4:5], v[2:3], v[8:9]
	scratch_store_b128 off, v[6:9], off offset:912 ; 16-byte Folded Spill
	v_fma_f64 v[122:123], v[0:1], v[6:7], -v[4:5]
	v_mul_f64_e32 v[0:1], v[0:1], v[8:9]
	v_add_f64_e32 v[4:5], v[56:57], v[72:73]
	s_delay_alu instid0(VALU_DEP_2)
	v_fma_f64 v[120:121], v[2:3], v[6:7], v[0:1]
	ds_load_b128 v[0:3], v20
	v_add_f64_e32 v[6:7], v[30:31], v[40:41]
	s_wait_dscnt 0x0
	v_fma_f64 v[124:125], v[4:5], -0.5, v[0:1]
	v_add_f64_e32 v[4:5], v[36:37], v[88:89]
	v_add_f64_e32 v[14:15], v[14:15], v[120:121]
	s_delay_alu instid0(VALU_DEP_4) | instskip(NEXT) | instid1(VALU_DEP_3)
	v_add_f64_e32 v[6:7], v[6:7], v[60:61]
	v_fma_f64 v[128:129], v[4:5], -0.5, v[0:1]
	v_add_f64_e32 v[4:5], v[58:59], v[74:75]
	v_add_f64_e32 v[0:1], v[0:1], v[36:37]
	s_delay_alu instid0(VALU_DEP_4) | instskip(NEXT) | instid1(VALU_DEP_3)
	v_add_f64_e32 v[6:7], v[6:7], v[76:77]
	v_fma_f64 v[126:127], v[4:5], -0.5, v[2:3]
	v_add_f64_e32 v[4:5], v[38:39], v[90:91]
	s_delay_alu instid0(VALU_DEP_4) | instskip(NEXT) | instid1(VALU_DEP_4)
	v_add_f64_e32 v[0:1], v[0:1], v[56:57]
	v_add_f64_e32 v[6:7], v[6:7], v[92:93]
	s_delay_alu instid0(VALU_DEP_3) | instskip(SKIP_3) | instid1(VALU_DEP_3)
	v_fma_f64 v[130:131], v[4:5], -0.5, v[2:3]
	v_add_f64_e32 v[4:5], v[28:29], v[42:43]
	v_add_f64_e32 v[2:3], v[2:3], v[38:39]
	;; [unrolled: 1-line block ×4, first 2 shown]
	s_delay_alu instid0(VALU_DEP_3) | instskip(NEXT) | instid1(VALU_DEP_3)
	v_add_f64_e32 v[2:3], v[2:3], v[58:59]
	v_add_f64_e32 v[0:1], v[0:1], v[88:89]
	s_delay_alu instid0(VALU_DEP_3) | instskip(NEXT) | instid1(VALU_DEP_3)
	v_add_f64_e32 v[4:5], v[4:5], v[78:79]
	v_add_f64_e32 v[2:3], v[2:3], v[74:75]
	s_delay_alu instid0(VALU_DEP_2) | instskip(NEXT) | instid1(VALU_DEP_2)
	v_add_f64_e32 v[4:5], v[4:5], v[94:95]
	v_add_f64_e32 v[2:3], v[2:3], v[90:91]
	s_delay_alu instid0(VALU_DEP_2) | instskip(SKIP_2) | instid1(VALU_DEP_4)
	v_add_f64_e32 v[162:163], v[0:1], v[4:5]
	v_add_f64_e64 v[166:167], v[0:1], -v[4:5]
	v_add_f64_e32 v[4:5], v[44:45], v[80:81]
	v_add_f64_e32 v[164:165], v[2:3], v[6:7]
	v_add_f64_e64 v[168:169], v[2:3], -v[6:7]
	ds_load_b128 v[0:3], v20 offset:1920
	v_add_f64_e32 v[6:7], v[18:19], v[24:25]
	s_wait_dscnt 0x0
	v_fma_f64 v[132:133], v[4:5], -0.5, v[0:1]
	v_add_f64_e32 v[4:5], v[148:149], v[96:97]
	s_delay_alu instid0(VALU_DEP_3) | instskip(NEXT) | instid1(VALU_DEP_2)
	v_add_f64_e32 v[6:7], v[6:7], v[68:69]
	v_fma_f64 v[136:137], v[4:5], -0.5, v[0:1]
	v_add_f64_e32 v[4:5], v[46:47], v[82:83]
	v_add_f64_e32 v[0:1], v[0:1], v[148:149]
	s_delay_alu instid0(VALU_DEP_4) | instskip(NEXT) | instid1(VALU_DEP_3)
	v_add_f64_e32 v[6:7], v[6:7], v[84:85]
	v_fma_f64 v[134:135], v[4:5], -0.5, v[2:3]
	v_add_f64_e32 v[4:5], v[22:23], v[98:99]
	s_delay_alu instid0(VALU_DEP_4) | instskip(NEXT) | instid1(VALU_DEP_4)
	v_add_f64_e32 v[0:1], v[0:1], v[44:45]
	v_add_f64_e32 v[6:7], v[6:7], v[104:105]
	s_delay_alu instid0(VALU_DEP_3) | instskip(SKIP_3) | instid1(VALU_DEP_3)
	v_fma_f64 v[138:139], v[4:5], -0.5, v[2:3]
	v_add_f64_e32 v[2:3], v[2:3], v[22:23]
	v_add_f64_e32 v[4:5], v[16:17], v[26:27]
	;; [unrolled: 1-line block ×4, first 2 shown]
	s_delay_alu instid0(VALU_DEP_3) | instskip(NEXT) | instid1(VALU_DEP_3)
	v_add_f64_e32 v[4:5], v[4:5], v[70:71]
	v_add_f64_e32 v[8:9], v[0:1], v[96:97]
	s_delay_alu instid0(VALU_DEP_3) | instskip(NEXT) | instid1(VALU_DEP_3)
	v_add_f64_e32 v[2:3], v[2:3], v[82:83]
	v_add_f64_e32 v[4:5], v[4:5], v[86:87]
	s_delay_alu instid0(VALU_DEP_2) | instskip(NEXT) | instid1(VALU_DEP_2)
	v_add_f64_e32 v[10:11], v[2:3], v[98:99]
	v_add_f64_e32 v[4:5], v[4:5], v[106:107]
	s_delay_alu instid0(VALU_DEP_2) | instskip(NEXT) | instid1(VALU_DEP_2)
	v_add_f64_e32 v[2:3], v[10:11], v[6:7]
	v_add_f64_e32 v[0:1], v[8:9], v[4:5]
	v_add_f64_e64 v[4:5], v[8:9], -v[4:5]
	v_add_f64_e64 v[6:7], v[10:11], -v[6:7]
	ds_load_b128 v[8:11], v20 offset:3840
	global_wb scope:SCOPE_SE
	s_wait_storecnt_dscnt 0x0
	s_barrier_signal -1
	s_barrier_wait -1
	global_inv scope:SCOPE_SE
	ds_store_b128 v208, v[162:165]
	ds_store_b128 v208, v[166:169] offset:800
	v_add_f64_e64 v[161:162], v[36:37], -v[56:57]
	v_add_f64_e64 v[163:164], v[88:89], -v[72:73]
	v_add_f64_e64 v[36:37], v[56:57], -v[36:37]
	v_add_f64_e64 v[56:57], v[72:73], -v[88:89]
	v_add_f64_e64 v[72:73], v[78:79], -v[94:95]
	v_fma_f64 v[140:141], v[12:13], -0.5, v[8:9]
	v_add_f64_e32 v[12:13], v[48:49], v[116:117]
	s_delay_alu instid0(VALU_DEP_4) | instskip(NEXT) | instid1(VALU_DEP_2)
	v_add_f64_e32 v[56:57], v[36:37], v[56:57]
	v_fma_f64 v[144:145], v[12:13], -0.5, v[8:9]
	v_add_f64_e32 v[12:13], v[66:67], v[110:111]
	v_add_f64_e32 v[8:9], v[8:9], v[48:49]
	s_delay_alu instid0(VALU_DEP_2) | instskip(SKIP_1) | instid1(VALU_DEP_3)
	v_fma_f64 v[142:143], v[12:13], -0.5, v[10:11]
	v_add_f64_e32 v[12:13], v[50:51], v[118:119]
	v_add_f64_e32 v[8:9], v[8:9], v[64:65]
	s_delay_alu instid0(VALU_DEP_2) | instskip(SKIP_2) | instid1(VALU_DEP_4)
	v_fma_f64 v[146:147], v[12:13], -0.5, v[10:11]
	v_add_f64_e32 v[12:13], v[32:33], v[54:55]
	v_add_f64_e32 v[10:11], v[10:11], v[50:51]
	;; [unrolled: 1-line block ×3, first 2 shown]
	s_delay_alu instid0(VALU_DEP_3) | instskip(NEXT) | instid1(VALU_DEP_3)
	v_add_f64_e32 v[12:13], v[12:13], v[102:103]
	v_add_f64_e32 v[10:11], v[10:11], v[66:67]
	s_delay_alu instid0(VALU_DEP_3) | instskip(NEXT) | instid1(VALU_DEP_3)
	v_add_f64_e32 v[172:173], v[8:9], v[116:117]
	v_add_f64_e32 v[12:13], v[12:13], v[114:115]
	s_delay_alu instid0(VALU_DEP_3) | instskip(NEXT) | instid1(VALU_DEP_2)
	v_add_f64_e32 v[10:11], v[10:11], v[110:111]
	v_add_f64_e32 v[12:13], v[12:13], v[122:123]
	s_delay_alu instid0(VALU_DEP_2) | instskip(NEXT) | instid1(VALU_DEP_2)
	v_add_f64_e32 v[174:175], v[10:11], v[118:119]
	v_add_f64_e32 v[8:9], v[172:173], v[12:13]
	v_add_f64_e64 v[12:13], v[172:173], -v[12:13]
	v_add_f64_e32 v[172:173], v[161:162], v[163:164]
	v_add_f64_e64 v[161:162], v[38:39], -v[58:59]
	v_add_f64_e64 v[163:164], v[90:91], -v[74:75]
	v_add_f64_e32 v[10:11], v[174:175], v[14:15]
	v_add_f64_e64 v[14:15], v[174:175], -v[14:15]
	v_add_f64_e64 v[38:39], v[58:59], -v[38:39]
	;; [unrolled: 1-line block ×4, first 2 shown]
	v_add_f64_e32 v[174:175], v[161:162], v[163:164]
	v_add_f64_e64 v[161:162], v[42:43], -v[62:63]
	v_add_f64_e64 v[163:164], v[94:95], -v[78:79]
	v_add_f64_e32 v[58:59], v[38:39], v[58:59]
	s_delay_alu instid0(VALU_DEP_2) | instskip(SKIP_2) | instid1(VALU_DEP_1)
	v_add_f64_e32 v[176:177], v[161:162], v[163:164]
	v_add_f64_e64 v[161:162], v[40:41], -v[60:61]
	v_add_f64_e64 v[163:164], v[92:93], -v[76:77]
	v_add_f64_e32 v[178:179], v[161:162], v[163:164]
	v_add_f64_e32 v[161:162], v[62:63], v[78:79]
	v_add_f64_e64 v[62:63], v[62:63], -v[42:43]
	v_add_f64_e32 v[42:43], v[42:43], v[94:95]
	s_delay_alu instid0(VALU_DEP_3)
	v_fma_f64 v[180:181], v[161:162], -0.5, v[28:29]
	v_add_f64_e32 v[161:162], v[60:61], v[76:77]
	v_add_f64_e64 v[60:61], v[60:61], -v[40:41]
	v_add_f64_e32 v[40:41], v[40:41], v[92:93]
	v_fma_f64 v[42:43], v[42:43], -0.5, v[28:29]
	v_add_f64_e32 v[62:63], v[62:63], v[72:73]
	v_fma_f64 v[163:164], v[188:189], s[16:17], v[180:181]
	v_fma_f64 v[182:183], v[161:162], -0.5, v[30:31]
	v_add_f64_e32 v[60:61], v[60:61], v[74:75]
	v_fma_f64 v[40:41], v[40:41], -0.5, v[30:31]
	v_fma_f64 v[30:31], v[190:191], s[18:19], v[42:43]
	v_fma_f64 v[42:43], v[190:191], s[16:17], v[42:43]
	;; [unrolled: 1-line block ×16, first 2 shown]
	s_delay_alu instid0(VALU_DEP_3) | instskip(SKIP_1) | instid1(VALU_DEP_4)
	v_fma_f64 v[40:41], v[60:61], s[14:15], v[40:41]
	v_mul_f64_e32 v[60:61], s[20:21], v[42:43]
	v_mul_f64_e32 v[165:166], s[2:3], v[161:162]
	s_delay_alu instid0(VALU_DEP_4) | instskip(NEXT) | instid1(VALU_DEP_3)
	v_mul_f64_e32 v[36:37], s[16:17], v[28:29]
	v_fma_f64 v[60:61], v[40:41], s[16:17], v[60:61]
	v_mul_f64_e32 v[40:41], s[20:21], v[40:41]
	s_delay_alu instid0(VALU_DEP_4) | instskip(SKIP_4) | instid1(VALU_DEP_4)
	v_fma_f64 v[165:166], v[163:164], s[24:25], v[165:166]
	v_mul_f64_e32 v[163:164], s[12:13], v[163:164]
	v_fma_f64 v[36:37], v[30:31], s[14:15], v[36:37]
	v_mul_f64_e32 v[30:31], s[18:19], v[30:31]
	v_fma_f64 v[62:63], v[42:43], s[18:19], v[40:41]
	v_fma_f64 v[167:168], v[161:162], s[24:25], v[163:164]
	;; [unrolled: 1-line block ×3, first 2 shown]
	s_delay_alu instid0(VALU_DEP_4) | instskip(SKIP_4) | instid1(VALU_DEP_4)
	v_fma_f64 v[38:39], v[28:29], s[14:15], v[30:31]
	v_fma_f64 v[28:29], v[194:195], s[18:19], v[128:129]
	;; [unrolled: 1-line block ×6, first 2 shown]
	s_delay_alu instid0(VALU_DEP_4) | instskip(NEXT) | instid1(VALU_DEP_4)
	v_fma_f64 v[30:31], v[196:197], s[12:13], v[30:31]
	v_fma_f64 v[163:164], v[198:199], s[12:13], v[163:164]
	s_delay_alu instid0(VALU_DEP_4) | instskip(NEXT) | instid1(VALU_DEP_4)
	v_fma_f64 v[200:201], v[172:173], s[14:15], v[161:162]
	v_fma_f64 v[72:73], v[56:57], s[14:15], v[28:29]
	;; [unrolled: 3-line block ×3, first 2 shown]
	s_delay_alu instid0(VALU_DEP_4)
	v_add_f64_e32 v[161:162], v[200:201], v[165:166]
	v_add_f64_e64 v[165:166], v[200:201], -v[165:166]
	v_add_f64_e32 v[28:29], v[72:73], v[36:37]
	v_add_f64_e64 v[36:37], v[72:73], -v[36:37]
	v_fma_f64 v[72:73], v[194:195], s[16:17], v[128:129]
	v_add_f64_e32 v[30:31], v[74:75], v[38:39]
	v_add_f64_e64 v[38:39], v[74:75], -v[38:39]
	v_fma_f64 v[74:75], v[184:185], s[16:17], v[182:183]
	v_add_f64_e64 v[182:183], v[46:47], -v[82:83]
	v_add_f64_e64 v[184:185], v[148:149], -v[96:97]
	v_add_f64_e32 v[163:164], v[202:203], v[167:168]
	v_add_f64_e64 v[167:168], v[202:203], -v[167:168]
	v_fma_f64 v[72:73], v[192:193], s[12:13], v[72:73]
	v_fma_f64 v[74:75], v[186:187], s[2:3], v[74:75]
	v_add_f64_e64 v[186:187], v[44:45], -v[80:81]
	s_delay_alu instid0(VALU_DEP_3) | instskip(SKIP_1) | instid1(VALU_DEP_2)
	v_fma_f64 v[56:57], v[56:57], s[14:15], v[72:73]
	v_fma_f64 v[72:73], v[198:199], s[18:19], v[130:131]
	v_add_f64_e32 v[40:41], v[56:57], v[60:61]
	s_delay_alu instid0(VALU_DEP_2) | instskip(SKIP_3) | instid1(VALU_DEP_4)
	v_fma_f64 v[72:73], v[196:197], s[2:3], v[72:73]
	v_add_f64_e64 v[56:57], v[56:57], -v[60:61]
	v_fma_f64 v[60:61], v[188:189], s[18:19], v[180:181]
	v_add_f64_e64 v[180:181], v[22:23], -v[98:99]
	v_fma_f64 v[58:59], v[58:59], s[14:15], v[72:73]
	v_fma_f64 v[72:73], v[196:197], s[16:17], v[126:127]
	s_delay_alu instid0(VALU_DEP_4) | instskip(NEXT) | instid1(VALU_DEP_3)
	v_fma_f64 v[60:61], v[190:191], s[12:13], v[60:61]
	v_add_f64_e32 v[42:43], v[58:59], v[62:63]
	v_add_f64_e64 v[58:59], v[58:59], -v[62:63]
	v_fma_f64 v[62:63], v[192:193], s[18:19], v[124:125]
	v_fma_f64 v[72:73], v[198:199], s[2:3], v[72:73]
	v_fma_f64 v[60:61], v[176:177], s[14:15], v[60:61]
	v_add_f64_e64 v[176:177], v[24:25], -v[104:105]
	s_delay_alu instid0(VALU_DEP_4) | instskip(NEXT) | instid1(VALU_DEP_4)
	v_fma_f64 v[62:63], v[194:195], s[12:13], v[62:63]
	v_fma_f64 v[78:79], v[174:175], s[14:15], v[72:73]
	s_delay_alu instid0(VALU_DEP_4) | instskip(SKIP_1) | instid1(VALU_DEP_4)
	v_mul_f64_e32 v[72:73], s[22:23], v[60:61]
	v_add_f64_e64 v[174:175], v[70:71], -v[86:87]
	v_fma_f64 v[76:77], v[172:173], s[14:15], v[62:63]
	v_fma_f64 v[62:63], v[178:179], s[14:15], v[74:75]
	v_add_f64_e64 v[178:179], v[68:69], -v[84:85]
	v_add_f64_e64 v[172:173], v[26:27], -v[106:107]
	s_delay_alu instid0(VALU_DEP_3) | instskip(SKIP_1) | instid1(VALU_DEP_1)
	v_fma_f64 v[72:73], v[62:63], s[2:3], v[72:73]
	v_mul_f64_e32 v[62:63], s[22:23], v[62:63]
	v_fma_f64 v[74:75], v[60:61], s[12:13], v[62:63]
	s_delay_alu instid0(VALU_DEP_3)
	v_add_f64_e32 v[60:61], v[76:77], v[72:73]
	v_add_f64_e64 v[72:73], v[76:77], -v[72:73]
	v_add_f64_e64 v[76:77], v[148:149], -v[44:45]
	;; [unrolled: 1-line block ×4, first 2 shown]
	v_add_f64_e32 v[62:63], v[78:79], v[74:75]
	v_add_f64_e64 v[74:75], v[78:79], -v[74:75]
	v_add_f64_e64 v[78:79], v[96:97], -v[80:81]
	;; [unrolled: 1-line block ×3, first 2 shown]
	ds_store_b128 v208, v[161:164] offset:160
	ds_store_b128 v208, v[28:31] offset:320
	ds_store_b128 v208, v[40:43] offset:480
	ds_store_b128 v208, v[60:63] offset:640
	ds_store_b128 v208, v[165:168] offset:960
	ds_store_b128 v208, v[36:39] offset:1120
	ds_store_b128 v208, v[56:59] offset:1280
	ds_store_b128 v208, v[72:75] offset:1440
	v_add_f64_e32 v[92:93], v[76:77], v[78:79]
	v_add_f64_e64 v[76:77], v[22:23], -v[46:47]
	v_add_f64_e64 v[78:79], v[98:99], -v[82:83]
	v_add_f64_e64 v[21:22], v[46:47], -v[22:23]
	v_add_f64_e64 v[46:47], v[82:83], -v[98:99]
	v_add_f64_e64 v[82:83], v[86:87], -v[106:107]
	v_add_f64_e32 v[44:45], v[44:45], v[80:81]
	v_add_f64_e32 v[94:95], v[76:77], v[78:79]
	v_add_f64_e64 v[76:77], v[26:27], -v[70:71]
	v_add_f64_e64 v[78:79], v[106:107], -v[86:87]
	v_add_f64_e32 v[46:47], v[21:22], v[46:47]
	s_delay_alu instid0(VALU_DEP_2) | instskip(SKIP_2) | instid1(VALU_DEP_1)
	v_add_f64_e32 v[124:125], v[76:77], v[78:79]
	v_add_f64_e64 v[76:77], v[24:25], -v[68:69]
	v_add_f64_e64 v[78:79], v[104:105], -v[84:85]
	v_add_f64_e32 v[126:127], v[76:77], v[78:79]
	v_add_f64_e32 v[76:77], v[70:71], v[86:87]
	v_add_f64_e64 v[70:71], v[70:71], -v[26:27]
	v_add_f64_e32 v[26:27], v[26:27], v[106:107]
	s_delay_alu instid0(VALU_DEP_3)
	v_fma_f64 v[128:129], v[76:77], -0.5, v[16:17]
	v_add_f64_e32 v[76:77], v[68:69], v[84:85]
	v_add_f64_e64 v[68:69], v[68:69], -v[24:25]
	v_add_f64_e32 v[23:24], v[24:25], v[104:105]
	v_add_f64_e64 v[84:85], v[84:85], -v[104:105]
	v_fma_f64 v[26:27], v[26:27], -0.5, v[16:17]
	v_add_f64_e32 v[70:71], v[70:71], v[82:83]
	v_fma_f64 v[78:79], v[176:177], s[16:17], v[128:129]
	v_fma_f64 v[130:131], v[76:77], -0.5, v[18:19]
	v_fma_f64 v[86:87], v[23:24], -0.5, v[18:19]
	v_add_f64_e32 v[68:69], v[68:69], v[84:85]
	v_fma_f64 v[18:19], v[178:179], s[18:19], v[26:27]
	v_fma_f64 v[26:27], v[178:179], s[16:17], v[26:27]
	;; [unrolled: 1-line block ×6, first 2 shown]
	v_add_f64_e64 v[130:131], v[54:55], -v[122:123]
	v_fma_f64 v[18:19], v[176:177], s[2:3], v[18:19]
	v_fma_f64 v[26:27], v[176:177], s[12:13], v[26:27]
	;; [unrolled: 1-line block ×9, first 2 shown]
	s_delay_alu instid0(VALU_DEP_4) | instskip(NEXT) | instid1(VALU_DEP_2)
	v_fma_f64 v[16:17], v[68:69], s[14:15], v[16:17]
	v_mul_f64_e32 v[88:89], s[2:3], v[76:77]
	s_delay_alu instid0(VALU_DEP_2) | instskip(NEXT) | instid1(VALU_DEP_2)
	v_mul_f64_e32 v[21:22], s[16:17], v[16:17]
	v_fma_f64 v[88:89], v[78:79], s[24:25], v[88:89]
	v_mul_f64_e32 v[78:79], s[12:13], v[78:79]
	s_delay_alu instid0(VALU_DEP_3) | instskip(SKIP_1) | instid1(VALU_DEP_3)
	v_fma_f64 v[21:22], v[18:19], s[14:15], v[21:22]
	v_mul_f64_e32 v[18:19], s[18:19], v[18:19]
	v_fma_f64 v[90:91], v[76:77], s[24:25], v[78:79]
	v_fma_f64 v[76:77], v[180:181], s[16:17], v[132:133]
	s_delay_alu instid0(VALU_DEP_3) | instskip(SKIP_4) | instid1(VALU_DEP_4)
	v_fma_f64 v[24:25], v[16:17], s[14:15], v[18:19]
	v_fma_f64 v[16:17], v[182:183], s[18:19], v[136:137]
	v_fma_f64 v[18:19], v[186:187], s[16:17], v[138:139]
	v_fma_f64 v[78:79], v[184:185], s[18:19], v[134:135]
	v_fma_f64 v[76:77], v[182:183], s[2:3], v[76:77]
	v_fma_f64 v[16:17], v[180:181], s[2:3], v[16:17]
	s_delay_alu instid0(VALU_DEP_4) | instskip(NEXT) | instid1(VALU_DEP_4)
	v_fma_f64 v[18:19], v[184:185], s[12:13], v[18:19]
	v_fma_f64 v[78:79], v[186:187], s[12:13], v[78:79]
	s_delay_alu instid0(VALU_DEP_4) | instskip(NEXT) | instid1(VALU_DEP_4)
	v_fma_f64 v[188:189], v[92:93], s[14:15], v[76:77]
	v_fma_f64 v[80:81], v[44:45], s[14:15], v[16:17]
	s_delay_alu instid0(VALU_DEP_4) | instskip(NEXT) | instid1(VALU_DEP_4)
	v_fma_f64 v[82:83], v[46:47], s[14:15], v[18:19]
	v_fma_f64 v[190:191], v[94:95], s[14:15], v[78:79]
	s_delay_alu instid0(VALU_DEP_4)
	v_add_f64_e32 v[76:77], v[188:189], v[88:89]
	v_add_f64_e64 v[88:89], v[188:189], -v[88:89]
	v_add_f64_e32 v[16:17], v[80:81], v[21:22]
	v_add_f64_e64 v[22:23], v[80:81], -v[21:22]
	v_fma_f64 v[80:81], v[182:183], s[16:17], v[136:137]
	v_add_f64_e32 v[18:19], v[82:83], v[24:25]
	v_add_f64_e64 v[24:25], v[82:83], -v[24:25]
	v_add_f64_e64 v[136:137], v[100:101], -v[112:113]
	v_add_f64_e32 v[78:79], v[190:191], v[90:91]
	v_add_f64_e64 v[90:91], v[190:191], -v[90:91]
	v_and_b32_e32 v21, 0xffff, v157
	s_delay_alu instid0(VALU_DEP_1) | instskip(NEXT) | instid1(VALU_DEP_1)
	v_mul_u32_u24_e32 v21, 0x64, v21
	v_add_lshl_u32 v205, v21, v158, 4
	v_fma_f64 v[80:81], v[180:181], s[12:13], v[80:81]
	s_delay_alu instid0(VALU_DEP_1) | instskip(SKIP_2) | instid1(VALU_DEP_2)
	v_fma_f64 v[80:81], v[44:45], s[14:15], v[80:81]
	v_fma_f64 v[44:45], v[186:187], s[18:19], v[138:139]
	v_add_f64_e64 v[138:139], v[50:51], -v[118:119]
	v_fma_f64 v[44:45], v[184:185], s[2:3], v[44:45]
	s_delay_alu instid0(VALU_DEP_1) | instskip(SKIP_3) | instid1(VALU_DEP_3)
	v_fma_f64 v[82:83], v[46:47], s[14:15], v[44:45]
	v_fma_f64 v[44:45], v[174:175], s[18:19], v[86:87]
	v_mul_f64_e32 v[46:47], s[20:21], v[26:27]
	v_add_f64_e64 v[174:175], v[64:65], -v[108:109]
	v_fma_f64 v[44:45], v[172:173], s[2:3], v[44:45]
	v_add_f64_e64 v[172:173], v[48:49], -v[116:117]
	s_delay_alu instid0(VALU_DEP_2) | instskip(NEXT) | instid1(VALU_DEP_1)
	v_fma_f64 v[44:45], v[68:69], s[14:15], v[44:45]
	v_fma_f64 v[68:69], v[44:45], s[16:17], v[46:47]
	v_mul_f64_e32 v[44:45], s[20:21], v[44:45]
	s_delay_alu instid0(VALU_DEP_1) | instskip(NEXT) | instid1(VALU_DEP_3)
	v_fma_f64 v[26:27], v[26:27], s[18:19], v[44:45]
	v_add_f64_e32 v[44:45], v[80:81], v[68:69]
	v_add_f64_e64 v[68:69], v[80:81], -v[68:69]
	v_fma_f64 v[80:81], v[180:181], s[18:19], v[132:133]
	v_add_f64_e64 v[132:133], v[102:103], -v[114:115]
	v_add_f64_e32 v[46:47], v[82:83], v[26:27]
	v_add_f64_e64 v[70:71], v[82:83], -v[26:27]
	v_fma_f64 v[26:27], v[176:177], s[18:19], v[128:129]
	v_fma_f64 v[82:83], v[184:185], s[16:17], v[134:135]
	;; [unrolled: 1-line block ×3, first 2 shown]
	v_add_f64_e64 v[134:135], v[52:53], -v[120:121]
	s_delay_alu instid0(VALU_DEP_4) | instskip(NEXT) | instid1(VALU_DEP_4)
	v_fma_f64 v[26:27], v[178:179], s[12:13], v[26:27]
	v_fma_f64 v[82:83], v[186:187], s[2:3], v[82:83]
	s_delay_alu instid0(VALU_DEP_4) | instskip(SKIP_1) | instid1(VALU_DEP_4)
	v_fma_f64 v[86:87], v[92:93], s[14:15], v[80:81]
	v_fma_f64 v[80:81], v[126:127], s[14:15], v[84:85]
	;; [unrolled: 1-line block ×3, first 2 shown]
	s_delay_alu instid0(VALU_DEP_4) | instskip(SKIP_1) | instid1(VALU_DEP_3)
	v_fma_f64 v[92:93], v[94:95], s[14:15], v[82:83]
	v_add_f64_e64 v[94:95], v[118:119], -v[110:111]
	v_mul_f64_e32 v[82:83], s[22:23], v[26:27]
	s_delay_alu instid0(VALU_DEP_1) | instskip(SKIP_1) | instid1(VALU_DEP_1)
	v_fma_f64 v[84:85], v[80:81], s[2:3], v[82:83]
	v_mul_f64_e32 v[80:81], s[22:23], v[80:81]
	v_fma_f64 v[26:27], v[26:27], s[12:13], v[80:81]
	s_delay_alu instid0(VALU_DEP_3) | instskip(SKIP_1) | instid1(VALU_DEP_3)
	v_add_f64_e32 v[80:81], v[86:87], v[84:85]
	v_add_f64_e64 v[84:85], v[86:87], -v[84:85]
	v_add_f64_e32 v[82:83], v[92:93], v[26:27]
	v_add_f64_e64 v[86:87], v[92:93], -v[26:27]
	v_add_f64_e64 v[26:27], v[48:49], -v[64:65]
	;; [unrolled: 1-line block ×6, first 2 shown]
	ds_store_b128 v205, v[0:3]
	ds_store_b128 v205, v[76:79] offset:160
	ds_store_b128 v205, v[16:19] offset:320
	;; [unrolled: 1-line block ×9, first 2 shown]
	v_mad_u16 v0, 0x64, v159, v160
	s_delay_alu instid0(VALU_DEP_1)
	v_and_b32_e32 v0, 0xffff, v0
	v_add_f64_e32 v[26:27], v[26:27], v[92:93]
	v_add_f64_e64 v[92:93], v[50:51], -v[66:67]
	v_add_f64_e64 v[50:51], v[66:67], -v[50:51]
	;; [unrolled: 1-line block ×4, first 2 shown]
	v_add_f64_e32 v[64:65], v[48:49], v[64:65]
	v_lshlrev_b32_e32 v171, 4, v0
	v_add_nc_u32_e32 v0, 0xffffff9c, v221
	v_add_f64_e32 v[104:105], v[92:93], v[94:95]
	v_add_f64_e64 v[92:93], v[54:55], -v[102:103]
	v_add_f64_e64 v[94:95], v[122:123], -v[114:115]
	v_add_f64_e32 v[66:67], v[50:51], v[66:67]
	s_delay_alu instid0(VALU_DEP_2) | instskip(SKIP_2) | instid1(VALU_DEP_1)
	v_add_f64_e32 v[106:107], v[92:93], v[94:95]
	v_add_f64_e64 v[92:93], v[52:53], -v[100:101]
	v_add_f64_e64 v[94:95], v[120:121], -v[112:113]
	v_add_f64_e32 v[124:125], v[92:93], v[94:95]
	v_add_f64_e32 v[92:93], v[102:103], v[114:115]
	v_add_f64_e64 v[102:103], v[102:103], -v[54:55]
	v_add_f64_e32 v[54:55], v[54:55], v[122:123]
	s_delay_alu instid0(VALU_DEP_3)
	v_fma_f64 v[126:127], v[92:93], -0.5, v[32:33]
	v_add_f64_e32 v[92:93], v[100:101], v[112:113]
	v_add_f64_e64 v[100:101], v[100:101], -v[52:53]
	v_add_f64_e32 v[52:53], v[52:53], v[120:121]
	v_fma_f64 v[54:55], v[54:55], -0.5, v[32:33]
	v_add_f64_e32 v[102:103], v[102:103], v[108:109]
	v_fma_f64 v[94:95], v[134:135], s[16:17], v[126:127]
	v_fma_f64 v[128:129], v[92:93], -0.5, v[34:35]
	v_add_f64_e32 v[100:101], v[100:101], v[110:111]
	v_fma_f64 v[52:53], v[52:53], -0.5, v[34:35]
	v_fma_f64 v[34:35], v[136:137], s[18:19], v[54:55]
	v_fma_f64 v[54:55], v[136:137], s[16:17], v[54:55]
	;; [unrolled: 1-line block ×16, first 2 shown]
	s_delay_alu instid0(VALU_DEP_3) | instskip(SKIP_1) | instid1(VALU_DEP_4)
	v_fma_f64 v[52:53], v[100:101], s[14:15], v[52:53]
	v_mul_f64_e32 v[100:101], s[20:21], v[54:55]
	v_mul_f64_e32 v[96:97], s[2:3], v[92:93]
	s_delay_alu instid0(VALU_DEP_4) | instskip(NEXT) | instid1(VALU_DEP_3)
	v_mul_f64_e32 v[48:49], s[16:17], v[32:33]
	v_fma_f64 v[100:101], v[52:53], s[16:17], v[100:101]
	v_mul_f64_e32 v[52:53], s[20:21], v[52:53]
	s_delay_alu instid0(VALU_DEP_4) | instskip(SKIP_4) | instid1(VALU_DEP_4)
	v_fma_f64 v[96:97], v[94:95], s[24:25], v[96:97]
	v_mul_f64_e32 v[94:95], s[12:13], v[94:95]
	v_fma_f64 v[48:49], v[34:35], s[14:15], v[48:49]
	v_mul_f64_e32 v[34:35], s[18:19], v[34:35]
	v_fma_f64 v[102:103], v[54:55], s[18:19], v[52:53]
	v_fma_f64 v[98:99], v[92:93], s[24:25], v[94:95]
	;; [unrolled: 1-line block ×3, first 2 shown]
	s_delay_alu instid0(VALU_DEP_4) | instskip(SKIP_4) | instid1(VALU_DEP_4)
	v_fma_f64 v[50:51], v[32:33], s[14:15], v[34:35]
	v_fma_f64 v[32:33], v[148:149], s[18:19], v[144:145]
	;; [unrolled: 1-line block ×6, first 2 shown]
	s_delay_alu instid0(VALU_DEP_4) | instskip(NEXT) | instid1(VALU_DEP_4)
	v_fma_f64 v[34:35], v[172:173], s[12:13], v[34:35]
	v_fma_f64 v[94:95], v[174:175], s[12:13], v[94:95]
	s_delay_alu instid0(VALU_DEP_4) | instskip(NEXT) | instid1(VALU_DEP_4)
	v_fma_f64 v[176:177], v[26:27], s[14:15], v[92:93]
	v_fma_f64 v[108:109], v[64:65], s[14:15], v[32:33]
	;; [unrolled: 3-line block ×3, first 2 shown]
	s_delay_alu instid0(VALU_DEP_4)
	v_add_f64_e32 v[92:93], v[176:177], v[96:97]
	v_add_f64_e64 v[96:97], v[176:177], -v[96:97]
	v_add_f64_e32 v[32:33], v[108:109], v[48:49]
	v_add_f64_e64 v[48:49], v[108:109], -v[48:49]
	v_fma_f64 v[108:109], v[148:149], s[16:17], v[144:145]
	v_add_f64_e32 v[34:35], v[110:111], v[50:51]
	v_add_f64_e64 v[50:51], v[110:111], -v[50:51]
	v_fma_f64 v[110:111], v[130:131], s[16:17], v[128:129]
	;; [unrolled: 3-line block ×3, first 2 shown]
	s_delay_alu instid0(VALU_DEP_4) | instskip(NEXT) | instid1(VALU_DEP_2)
	v_fma_f64 v[110:111], v[132:133], s[2:3], v[110:111]
	v_fma_f64 v[64:65], v[64:65], s[14:15], v[108:109]
	;; [unrolled: 1-line block ×3, first 2 shown]
	s_delay_alu instid0(VALU_DEP_2) | instskip(NEXT) | instid1(VALU_DEP_2)
	v_add_f64_e32 v[52:53], v[64:65], v[100:101]
	v_fma_f64 v[108:109], v[172:173], s[2:3], v[108:109]
	v_add_f64_e64 v[64:65], v[64:65], -v[100:101]
	v_fma_f64 v[100:101], v[134:135], s[18:19], v[126:127]
	s_delay_alu instid0(VALU_DEP_3) | instskip(SKIP_1) | instid1(VALU_DEP_3)
	v_fma_f64 v[66:67], v[66:67], s[14:15], v[108:109]
	v_fma_f64 v[108:109], v[172:173], s[16:17], v[142:143]
	v_fma_f64 v[100:101], v[136:137], s[12:13], v[100:101]
	s_delay_alu instid0(VALU_DEP_3) | instskip(SKIP_2) | instid1(VALU_DEP_4)
	v_add_f64_e32 v[54:55], v[66:67], v[102:103]
	v_add_f64_e64 v[66:67], v[66:67], -v[102:103]
	v_fma_f64 v[102:103], v[138:139], s[18:19], v[140:141]
	v_fma_f64 v[100:101], v[106:107], s[14:15], v[100:101]
	;; [unrolled: 1-line block ×3, first 2 shown]
	s_delay_alu instid0(VALU_DEP_3) | instskip(NEXT) | instid1(VALU_DEP_3)
	v_fma_f64 v[102:103], v[148:149], s[12:13], v[102:103]
	v_mul_f64_e32 v[106:107], s[22:23], v[100:101]
	s_delay_alu instid0(VALU_DEP_3) | instskip(NEXT) | instid1(VALU_DEP_3)
	v_fma_f64 v[104:105], v[104:105], s[14:15], v[108:109]
	v_fma_f64 v[26:27], v[26:27], s[14:15], v[102:103]
	;; [unrolled: 1-line block ×3, first 2 shown]
	s_delay_alu instid0(VALU_DEP_1) | instskip(SKIP_1) | instid1(VALU_DEP_2)
	v_fma_f64 v[106:107], v[102:103], s[2:3], v[106:107]
	v_mul_f64_e32 v[102:103], s[22:23], v[102:103]
	v_add_f64_e64 v[108:109], v[26:27], -v[106:107]
	s_delay_alu instid0(VALU_DEP_2) | instskip(SKIP_1) | instid1(VALU_DEP_2)
	v_fma_f64 v[110:111], v[100:101], s[12:13], v[102:103]
	v_add_f64_e32 v[100:101], v[26:27], v[106:107]
	v_add_f64_e32 v[102:103], v[104:105], v[110:111]
	v_add_f64_e64 v[110:111], v[104:105], -v[110:111]
	ds_store_b128 v171, v[8:11]
	ds_store_b128 v171, v[92:95] offset:160
	ds_store_b128 v171, v[32:35] offset:320
	;; [unrolled: 1-line block ×9, first 2 shown]
	v_cndmask_b32_e32 v108, v0, v221, vcc_lo
	scratch_store_b32 off, v221, off offset:492 ; 4-byte Folded Spill
	global_wb scope:SCOPE_SE
	s_wait_storecnt_dscnt 0x0
	s_barrier_signal -1
	s_barrier_wait -1
	v_mul_i32_i24_e32 v0, 0x50, v108
	v_mul_hi_i32_i24_e32 v1, 0x50, v108
	global_inv scope:SCOPE_SE
	ds_load_b128 v[2:5], v20 offset:9600
	v_add_co_u32 v18, vcc_lo, s10, v0
	s_wait_alu 0xfffd
	v_add_co_ci_u32_e32 v19, vcc_lo, s11, v1, vcc_lo
	v_cmp_lt_u16_e64 vcc_lo, 0x63, v220
	s_clause 0x2
	global_load_b128 v[6:9], v[18:19], off offset:1440
	global_load_b128 v[10:13], v[18:19], off offset:1456
	;; [unrolled: 1-line block ×3, first 2 shown]
	s_wait_loadcnt_dscnt 0x200
	v_mul_f64_e32 v[0:1], v[4:5], v[8:9]
	scratch_store_b128 off, v[6:9], off offset:928 ; 16-byte Folded Spill
	s_wait_loadcnt 0x1
	scratch_store_b128 off, v[10:13], off offset:944 ; 16-byte Folded Spill
	s_wait_loadcnt 0x0
	scratch_store_b128 off, v[21:24], off offset:960 ; 16-byte Folded Spill
	v_fma_f64 v[0:1], v[2:3], v[6:7], -v[0:1]
	v_mul_f64_e32 v[2:3], v[2:3], v[8:9]
	s_delay_alu instid0(VALU_DEP_1) | instskip(SKIP_3) | instid1(VALU_DEP_1)
	v_fma_f64 v[2:3], v[4:5], v[6:7], v[2:3]
	ds_load_b128 v[6:9], v20 offset:19200
	s_wait_dscnt 0x0
	v_mul_f64_e32 v[4:5], v[8:9], v[12:13]
	v_fma_f64 v[4:5], v[6:7], v[10:11], -v[4:5]
	v_mul_f64_e32 v[6:7], v[6:7], v[12:13]
	ds_load_b128 v[12:15], v20 offset:28800
	v_fma_f64 v[6:7], v[8:9], v[10:11], v[6:7]
	s_wait_dscnt 0x0
	v_mul_f64_e32 v[8:9], v[14:15], v[23:24]
	s_delay_alu instid0(VALU_DEP_1) | instskip(SKIP_1) | instid1(VALU_DEP_1)
	v_fma_f64 v[10:11], v[12:13], v[21:22], -v[8:9]
	v_mul_f64_e32 v[8:9], v[12:13], v[23:24]
	v_fma_f64 v[8:9], v[14:15], v[21:22], v[8:9]
	global_load_b128 v[21:24], v[18:19], off offset:1488
	ds_load_b128 v[14:17], v20 offset:38400
	s_wait_loadcnt_dscnt 0x0
	v_mul_f64_e32 v[12:13], v[16:17], v[23:24]
	scratch_store_b128 off, v[21:24], off offset:976 ; 16-byte Folded Spill
	v_fma_f64 v[12:13], v[14:15], v[21:22], -v[12:13]
	v_mul_f64_e32 v[14:15], v[14:15], v[23:24]
	global_load_b128 v[24:27], v[18:19], off offset:1504
	v_add_f64_e32 v[106:107], v[4:5], v[12:13]
	v_fma_f64 v[14:15], v[16:17], v[21:22], v[14:15]
	ds_load_b128 v[16:19], v20 offset:48000
	s_wait_loadcnt_dscnt 0x0
	v_mul_f64_e32 v[21:22], v[18:19], v[26:27]
	s_delay_alu instid0(VALU_DEP_1) | instskip(SKIP_2) | instid1(VALU_DEP_1)
	v_fma_f64 v[22:23], v[16:17], v[24:25], -v[21:22]
	v_mul_f64_e32 v[16:17], v[16:17], v[26:27]
	v_lshrrev_b16 v21, 2, v152
	v_and_b32_e32 v21, 0xffff, v21
	s_delay_alu instid0(VALU_DEP_1) | instskip(NEXT) | instid1(VALU_DEP_1)
	v_mul_u32_u24_e32 v21, 0x147b, v21
	v_lshrrev_b32_e32 v104, 17, v21
	s_delay_alu instid0(VALU_DEP_1) | instskip(NEXT) | instid1(VALU_DEP_1)
	v_mul_lo_u16 v21, 0x64, v104
	v_sub_nc_u16 v105, v152, v21
	s_delay_alu instid0(VALU_DEP_1) | instskip(NEXT) | instid1(VALU_DEP_1)
	v_mul_lo_u16 v21, 0x50, v105
	v_and_b32_e32 v21, 0xffff, v21
	v_fma_f64 v[18:19], v[18:19], v[24:25], v[16:17]
	v_mul_lo_u16 v16, v156, 41
	s_delay_alu instid0(VALU_DEP_3) | instskip(SKIP_2) | instid1(VALU_DEP_3)
	v_add_co_u32 v58, s26, s10, v21
	s_wait_alu 0xf1ff
	v_add_co_ci_u32_e64 v59, null, s11, 0, s26
	v_lshrrev_b16 v102, 12, v16
	v_add_nc_u16 v21, v220, 0x168
	s_clause 0x1
	global_load_b128 v[50:53], v[58:59], off offset:1456
	global_load_b128 v[60:63], v[58:59], off offset:1472
	v_mul_lo_u16 v16, 0x64, v102
	global_load_b128 v[64:67], v[58:59], off offset:1504
	v_sub_nc_u16 v16, v153, v16
	s_delay_alu instid0(VALU_DEP_1) | instskip(NEXT) | instid1(VALU_DEP_1)
	v_and_b32_e32 v103, 0xff, v16
	v_mad_co_u64_u32 v[38:39], null, 0x50, v103, s[10:11]
	global_load_b128 v[28:31], v[38:39], off offset:1440
	scratch_store_b128 off, v[24:27], off offset:992 ; 16-byte Folded Spill
	ds_load_b128 v[24:27], v20 offset:11520
	s_clause 0x1
	global_load_b128 v[40:43], v[38:39], off offset:1472
	global_load_b128 v[44:47], v[38:39], off offset:1504
	s_wait_loadcnt 0x5
	scratch_store_b128 off, v[50:53], off offset:1104 ; 16-byte Folded Spill
	s_wait_loadcnt 0x4
	scratch_store_b128 off, v[60:63], off offset:1120 ; 16-byte Folded Spill
	s_wait_loadcnt_dscnt 0x200
	v_mul_f64_e32 v[16:17], v[26:27], v[30:31]
	scratch_store_b128 off, v[28:31], off offset:1008 ; 16-byte Folded Spill
	s_wait_loadcnt 0x1
	scratch_store_b128 off, v[40:43], off offset:1040 ; 16-byte Folded Spill
	s_wait_loadcnt 0x0
	scratch_store_b128 off, v[44:47], off offset:1072 ; 16-byte Folded Spill
	v_fma_f64 v[16:17], v[24:25], v[28:29], -v[16:17]
	v_mul_f64_e32 v[24:25], v[24:25], v[30:31]
	global_load_b128 v[30:33], v[38:39], off offset:1456
	v_fma_f64 v[100:101], v[26:27], v[28:29], v[24:25]
	ds_load_b128 v[26:29], v20 offset:21120
	s_wait_loadcnt_dscnt 0x0
	v_mul_f64_e32 v[24:25], v[28:29], v[32:33]
	scratch_store_b128 off, v[30:33], off offset:1024 ; 16-byte Folded Spill
	v_fma_f64 v[24:25], v[26:27], v[30:31], -v[24:25]
	v_mul_f64_e32 v[26:27], v[26:27], v[32:33]
	ds_load_b128 v[32:35], v20 offset:30720
	v_fma_f64 v[26:27], v[28:29], v[30:31], v[26:27]
	s_wait_dscnt 0x0
	v_mul_f64_e32 v[28:29], v[34:35], v[42:43]
	s_delay_alu instid0(VALU_DEP_1) | instskip(SKIP_1) | instid1(VALU_DEP_1)
	v_fma_f64 v[30:31], v[32:33], v[40:41], -v[28:29]
	v_mul_f64_e32 v[28:29], v[32:33], v[42:43]
	v_fma_f64 v[28:29], v[34:35], v[40:41], v[28:29]
	global_load_b128 v[40:43], v[38:39], off offset:1488
	ds_load_b128 v[34:37], v20 offset:40320
	s_wait_loadcnt_dscnt 0x0
	v_mul_f64_e32 v[32:33], v[36:37], v[42:43]
	scratch_store_b128 off, v[40:43], off offset:1056 ; 16-byte Folded Spill
	v_fma_f64 v[32:33], v[34:35], v[40:41], -v[32:33]
	v_mul_f64_e32 v[34:35], v[34:35], v[42:43]
	s_delay_alu instid0(VALU_DEP_2) | instskip(NEXT) | instid1(VALU_DEP_2)
	v_add_f64_e32 v[125:126], v[24:25], v[32:33]
	v_fma_f64 v[34:35], v[36:37], v[40:41], v[34:35]
	ds_load_b128 v[40:43], v20 offset:49920
	s_wait_dscnt 0x0
	v_mul_f64_e32 v[36:37], v[42:43], v[46:47]
	s_delay_alu instid0(VALU_DEP_1)
	v_fma_f64 v[38:39], v[40:41], v[44:45], -v[36:37]
	v_mul_f64_e32 v[36:37], v[40:41], v[46:47]
	global_load_b128 v[46:49], v[58:59], off offset:1440
	v_fma_f64 v[36:37], v[42:43], v[44:45], v[36:37]
	ds_load_b128 v[42:45], v20 offset:13440
	s_wait_loadcnt_dscnt 0x0
	v_mul_f64_e32 v[40:41], v[44:45], v[48:49]
	scratch_store_b128 off, v[46:49], off offset:1088 ; 16-byte Folded Spill
	v_fma_f64 v[40:41], v[42:43], v[46:47], -v[40:41]
	v_mul_f64_e32 v[42:43], v[42:43], v[48:49]
	s_delay_alu instid0(VALU_DEP_1) | instskip(SKIP_3) | instid1(VALU_DEP_1)
	v_fma_f64 v[42:43], v[44:45], v[46:47], v[42:43]
	ds_load_b128 v[46:49], v20 offset:23040
	s_wait_dscnt 0x0
	v_mul_f64_e32 v[44:45], v[48:49], v[52:53]
	v_fma_f64 v[44:45], v[46:47], v[50:51], -v[44:45]
	v_mul_f64_e32 v[46:47], v[46:47], v[52:53]
	ds_load_b128 v[52:55], v20 offset:32640
	v_fma_f64 v[46:47], v[48:49], v[50:51], v[46:47]
	s_wait_dscnt 0x0
	v_mul_f64_e32 v[48:49], v[54:55], v[62:63]
	s_delay_alu instid0(VALU_DEP_1) | instskip(SKIP_1) | instid1(VALU_DEP_1)
	v_fma_f64 v[50:51], v[52:53], v[60:61], -v[48:49]
	v_mul_f64_e32 v[48:49], v[52:53], v[62:63]
	v_fma_f64 v[48:49], v[54:55], v[60:61], v[48:49]
	global_load_b128 v[60:63], v[58:59], off offset:1488
	ds_load_b128 v[54:57], v20 offset:42240
	s_wait_loadcnt_dscnt 0x0
	v_mul_f64_e32 v[52:53], v[56:57], v[62:63]
	scratch_store_b128 off, v[60:63], off offset:1136 ; 16-byte Folded Spill
	v_fma_f64 v[52:53], v[54:55], v[60:61], -v[52:53]
	v_mul_f64_e32 v[54:55], v[54:55], v[62:63]
	s_delay_alu instid0(VALU_DEP_2) | instskip(NEXT) | instid1(VALU_DEP_2)
	v_add_f64_e32 v[133:134], v[44:45], v[52:53]
	v_fma_f64 v[54:55], v[56:57], v[60:61], v[54:55]
	ds_load_b128 v[60:63], v20 offset:51840
	s_wait_dscnt 0x0
	v_mul_f64_e32 v[56:57], v[62:63], v[66:67]
	s_delay_alu instid0(VALU_DEP_1) | instskip(SKIP_2) | instid1(VALU_DEP_1)
	v_fma_f64 v[58:59], v[60:61], v[64:65], -v[56:57]
	v_mul_f64_e32 v[56:57], v[60:61], v[66:67]
	v_lshrrev_b16 v60, 2, v21
	v_and_b32_e32 v60, 0xffff, v60
	s_delay_alu instid0(VALU_DEP_1) | instskip(NEXT) | instid1(VALU_DEP_1)
	v_mul_u32_u24_e32 v60, 0x147b, v60
	v_lshrrev_b32_e32 v109, 17, v60
	s_delay_alu instid0(VALU_DEP_1) | instskip(NEXT) | instid1(VALU_DEP_1)
	v_mul_lo_u16 v60, 0x64, v109
	v_sub_nc_u16 v110, v21, v60
	s_delay_alu instid0(VALU_DEP_1) | instskip(NEXT) | instid1(VALU_DEP_1)
	v_mul_lo_u16 v21, 0x50, v110
	v_and_b32_e32 v21, 0xffff, v21
	s_delay_alu instid0(VALU_DEP_1)
	v_add_co_u32 v78, s26, s10, v21
	s_wait_alu 0xf1ff
	v_add_co_ci_u32_e64 v79, null, s11, 0, s26
	v_add_nc_u16 v21, v220, 0x1e0
	global_load_b128 v[70:73], v[78:79], off offset:1456
	scratch_store_b128 off, v[64:67], off offset:1152 ; 16-byte Folded Spill
	s_clause 0x2
	global_load_b128 v[66:69], v[78:79], off offset:1440
	global_load_b128 v[80:83], v[78:79], off offset:1472
	;; [unrolled: 1-line block ×3, first 2 shown]
	v_fma_f64 v[56:57], v[62:63], v[64:65], v[56:57]
	ds_load_b128 v[62:65], v20 offset:15360
	s_wait_loadcnt 0x3
	scratch_store_b128 off, v[70:73], off offset:1184 ; 16-byte Folded Spill
	s_wait_loadcnt_dscnt 0x200
	v_mul_f64_e32 v[60:61], v[64:65], v[68:69]
	scratch_store_b128 off, v[66:69], off offset:1168 ; 16-byte Folded Spill
	s_wait_loadcnt 0x1
	scratch_store_b128 off, v[80:83], off offset:1200 ; 16-byte Folded Spill
	s_wait_loadcnt 0x0
	scratch_store_b128 off, v[84:87], off offset:1232 ; 16-byte Folded Spill
	v_fma_f64 v[60:61], v[62:63], v[66:67], -v[60:61]
	v_mul_f64_e32 v[62:63], v[62:63], v[68:69]
	s_delay_alu instid0(VALU_DEP_1) | instskip(SKIP_3) | instid1(VALU_DEP_1)
	v_fma_f64 v[62:63], v[64:65], v[66:67], v[62:63]
	ds_load_b128 v[66:69], v20 offset:24960
	s_wait_dscnt 0x0
	v_mul_f64_e32 v[64:65], v[68:69], v[72:73]
	v_fma_f64 v[64:65], v[66:67], v[70:71], -v[64:65]
	v_mul_f64_e32 v[66:67], v[66:67], v[72:73]
	ds_load_b128 v[72:75], v20 offset:34560
	v_fma_f64 v[66:67], v[68:69], v[70:71], v[66:67]
	s_wait_dscnt 0x0
	v_mul_f64_e32 v[68:69], v[74:75], v[82:83]
	s_delay_alu instid0(VALU_DEP_1) | instskip(SKIP_1) | instid1(VALU_DEP_1)
	v_fma_f64 v[70:71], v[72:73], v[80:81], -v[68:69]
	v_mul_f64_e32 v[68:69], v[72:73], v[82:83]
	v_fma_f64 v[68:69], v[74:75], v[80:81], v[68:69]
	global_load_b128 v[80:83], v[78:79], off offset:1488
	ds_load_b128 v[74:77], v20 offset:44160
	s_wait_loadcnt_dscnt 0x0
	v_mul_f64_e32 v[72:73], v[76:77], v[82:83]
	scratch_store_b128 off, v[80:83], off offset:1216 ; 16-byte Folded Spill
	v_fma_f64 v[72:73], v[74:75], v[80:81], -v[72:73]
	v_mul_f64_e32 v[74:75], v[74:75], v[82:83]
	s_delay_alu instid0(VALU_DEP_2) | instskip(NEXT) | instid1(VALU_DEP_2)
	v_add_f64_e32 v[141:142], v[64:65], v[72:73]
	v_fma_f64 v[74:75], v[76:77], v[80:81], v[74:75]
	ds_load_b128 v[80:83], v20 offset:53760
	s_wait_dscnt 0x0
	v_mul_f64_e32 v[76:77], v[82:83], v[86:87]
	s_delay_alu instid0(VALU_DEP_1) | instskip(SKIP_2) | instid1(VALU_DEP_1)
	v_fma_f64 v[78:79], v[80:81], v[84:85], -v[76:77]
	v_mul_f64_e32 v[76:77], v[80:81], v[86:87]
	v_lshrrev_b16 v80, 2, v21
	v_and_b32_e32 v80, 0xffff, v80
	s_delay_alu instid0(VALU_DEP_1) | instskip(NEXT) | instid1(VALU_DEP_1)
	v_mul_u32_u24_e32 v80, 0x147b, v80
	v_lshrrev_b32_e32 v111, 17, v80
	s_delay_alu instid0(VALU_DEP_1) | instskip(NEXT) | instid1(VALU_DEP_1)
	v_mul_lo_u16 v80, 0x64, v111
	v_sub_nc_u16 v112, v21, v80
	s_delay_alu instid0(VALU_DEP_1) | instskip(NEXT) | instid1(VALU_DEP_1)
	v_mul_lo_u16 v21, 0x50, v112
	v_and_b32_e32 v21, 0xffff, v21
	v_fma_f64 v[76:77], v[82:83], v[84:85], v[76:77]
	ds_load_b128 v[82:85], v20 offset:17280
	v_add_co_u32 v98, s26, s10, v21
	s_wait_alu 0xf1ff
	v_add_co_ci_u32_e64 v99, null, s11, 0, s26
	s_wait_alu 0xfffd
	v_cndmask_b32_e64 v21, 0, 0x258, vcc_lo
	s_mov_b32 s26, 0xe8584caa
	s_mov_b32 s27, 0x3febb67a
	s_clause 0x3
	global_load_b128 v[86:89], v[98:99], off offset:1440
	global_load_b128 v[90:93], v[98:99], off offset:1456
	;; [unrolled: 1-line block ×4, first 2 shown]
	v_add_lshl_u32 v108, v108, v21, 4
	s_wait_alu 0xfffe
	s_mov_b32 s28, s26
	s_wait_loadcnt_dscnt 0x300
	v_mul_f64_e32 v[80:81], v[84:85], v[88:89]
	scratch_store_b128 off, v[86:89], off offset:1248 ; 16-byte Folded Spill
	s_wait_loadcnt 0x2
	scratch_store_b128 off, v[90:93], off offset:1264 ; 16-byte Folded Spill
	s_wait_loadcnt 0x1
	;; [unrolled: 2-line block ×3, first 2 shown]
	scratch_store_b128 off, v[117:120], off offset:1312 ; 16-byte Folded Spill
	v_fma_f64 v[80:81], v[82:83], v[86:87], -v[80:81]
	v_mul_f64_e32 v[82:83], v[82:83], v[88:89]
	s_delay_alu instid0(VALU_DEP_1) | instskip(SKIP_3) | instid1(VALU_DEP_1)
	v_fma_f64 v[82:83], v[84:85], v[86:87], v[82:83]
	ds_load_b128 v[86:89], v20 offset:26880
	s_wait_dscnt 0x0
	v_mul_f64_e32 v[84:85], v[88:89], v[92:93]
	v_fma_f64 v[84:85], v[86:87], v[90:91], -v[84:85]
	v_mul_f64_e32 v[86:87], v[86:87], v[92:93]
	ds_load_b128 v[92:95], v20 offset:36480
	v_fma_f64 v[86:87], v[88:89], v[90:91], v[86:87]
	s_wait_dscnt 0x0
	v_mul_f64_e32 v[88:89], v[94:95], v[115:116]
	s_delay_alu instid0(VALU_DEP_1) | instskip(SKIP_1) | instid1(VALU_DEP_1)
	v_fma_f64 v[90:91], v[92:93], v[113:114], -v[88:89]
	v_mul_f64_e32 v[88:89], v[92:93], v[115:116]
	v_fma_f64 v[88:89], v[94:95], v[113:114], v[88:89]
	global_load_b128 v[113:116], v[98:99], off offset:1488
	ds_load_b128 v[94:97], v20 offset:46080
	s_wait_loadcnt_dscnt 0x0
	v_mul_f64_e32 v[92:93], v[96:97], v[115:116]
	scratch_store_b128 off, v[113:116], off offset:1296 ; 16-byte Folded Spill
	v_fma_f64 v[92:93], v[94:95], v[113:114], -v[92:93]
	v_mul_f64_e32 v[94:95], v[94:95], v[115:116]
	s_delay_alu instid0(VALU_DEP_2) | instskip(NEXT) | instid1(VALU_DEP_2)
	v_add_f64_e32 v[156:157], v[84:85], v[92:93]
	v_fma_f64 v[94:95], v[96:97], v[113:114], v[94:95]
	ds_load_b128 v[113:116], v20 offset:55680
	s_wait_dscnt 0x0
	v_mul_f64_e32 v[96:97], v[115:116], v[119:120]
	s_delay_alu instid0(VALU_DEP_1) | instskip(SKIP_1) | instid1(VALU_DEP_1)
	v_fma_f64 v[98:99], v[113:114], v[117:118], -v[96:97]
	v_mul_f64_e32 v[96:97], v[113:114], v[119:120]
	v_fma_f64 v[96:97], v[115:116], v[117:118], v[96:97]
	ds_load_b128 v[113:116], v20
	v_add_f64_e32 v[117:118], v[6:7], v[14:15]
	s_wait_dscnt 0x0
	v_fma_f64 v[106:107], v[106:107], -0.5, v[113:114]
	v_add_f64_e32 v[113:114], v[113:114], v[4:5]
	s_delay_alu instid0(VALU_DEP_3) | instskip(SKIP_1) | instid1(VALU_DEP_3)
	v_fma_f64 v[152:153], v[117:118], -0.5, v[115:116]
	v_add_f64_e32 v[115:116], v[115:116], v[6:7]
	v_add_f64_e32 v[117:118], v[113:114], v[12:13]
	;; [unrolled: 1-line block ×3, first 2 shown]
	v_add_f64_e64 v[12:13], v[4:5], -v[12:13]
	s_delay_alu instid0(VALU_DEP_4) | instskip(SKIP_1) | instid1(VALU_DEP_4)
	v_add_f64_e32 v[119:120], v[115:116], v[14:15]
	v_add_f64_e64 v[14:15], v[6:7], -v[14:15]
	v_add_f64_e32 v[121:122], v[113:114], v[22:23]
	v_add_f64_e32 v[113:114], v[2:3], v[8:9]
	s_delay_alu instid0(VALU_DEP_1) | instskip(NEXT) | instid1(VALU_DEP_3)
	v_add_f64_e32 v[123:124], v[113:114], v[18:19]
	v_add_f64_e32 v[113:114], v[117:118], v[121:122]
	v_add_f64_e64 v[117:118], v[117:118], -v[121:122]
	s_delay_alu instid0(VALU_DEP_3)
	v_add_f64_e32 v[115:116], v[119:120], v[123:124]
	v_add_f64_e64 v[119:120], v[119:120], -v[123:124]
	ds_load_b128 v[121:124], v20 offset:1920
	s_wait_dscnt 0x0
	v_fma_f64 v[164:165], v[125:126], -0.5, v[121:122]
	v_add_f64_e32 v[125:126], v[26:27], v[34:35]
	v_add_f64_e32 v[121:122], v[121:122], v[24:25]
	s_delay_alu instid0(VALU_DEP_2) | instskip(NEXT) | instid1(VALU_DEP_2)
	v_fma_f64 v[166:167], v[125:126], -0.5, v[123:124]
	v_add_f64_e32 v[125:126], v[121:122], v[32:33]
	v_add_f64_e32 v[121:122], v[16:17], v[30:31]
	;; [unrolled: 1-line block ×3, first 2 shown]
	v_add_f64_e64 v[26:27], v[26:27], -v[34:35]
	v_add_f64_e64 v[32:33], v[24:25], -v[32:33]
	s_delay_alu instid0(VALU_DEP_4) | instskip(SKIP_2) | instid1(VALU_DEP_2)
	v_add_f64_e32 v[129:130], v[121:122], v[38:39]
	v_add_f64_e32 v[121:122], v[100:101], v[28:29]
	;; [unrolled: 1-line block ×4, first 2 shown]
	s_delay_alu instid0(VALU_DEP_4) | instskip(SKIP_1) | instid1(VALU_DEP_3)
	v_add_f64_e32 v[121:122], v[125:126], v[129:130]
	v_add_f64_e64 v[125:126], v[125:126], -v[129:130]
	v_add_f64_e32 v[123:124], v[127:128], v[131:132]
	v_add_f64_e64 v[127:128], v[127:128], -v[131:132]
	ds_load_b128 v[129:132], v20 offset:3840
	s_wait_dscnt 0x0
	v_fma_f64 v[168:169], v[133:134], -0.5, v[129:130]
	v_add_f64_e32 v[133:134], v[46:47], v[54:55]
	v_add_f64_e32 v[129:130], v[129:130], v[44:45]
	v_add_f64_e64 v[44:45], v[44:45], -v[52:53]
	s_delay_alu instid0(VALU_DEP_3) | instskip(NEXT) | instid1(VALU_DEP_3)
	v_fma_f64 v[172:173], v[133:134], -0.5, v[131:132]
	v_add_f64_e32 v[133:134], v[129:130], v[52:53]
	v_add_f64_e32 v[129:130], v[40:41], v[50:51]
	;; [unrolled: 1-line block ×3, first 2 shown]
	v_add_f64_e64 v[46:47], v[46:47], -v[54:55]
	s_delay_alu instid0(VALU_DEP_3) | instskip(SKIP_1) | instid1(VALU_DEP_4)
	v_add_f64_e32 v[137:138], v[129:130], v[58:59]
	v_add_f64_e32 v[129:130], v[42:43], v[48:49]
	;; [unrolled: 1-line block ×3, first 2 shown]
	s_delay_alu instid0(VALU_DEP_4) | instskip(SKIP_1) | instid1(VALU_DEP_4)
	v_fma_f64 v[54:55], v[46:47], s[26:27], v[168:169]
	v_fma_f64 v[46:47], v[46:47], s[28:29], v[168:169]
	v_add_f64_e32 v[139:140], v[129:130], v[56:57]
	v_add_f64_e32 v[129:130], v[133:134], v[137:138]
	v_add_f64_e64 v[133:134], v[133:134], -v[137:138]
	s_delay_alu instid0(VALU_DEP_3)
	v_add_f64_e32 v[131:132], v[135:136], v[139:140]
	v_add_f64_e64 v[135:136], v[135:136], -v[139:140]
	ds_load_b128 v[137:140], v20 offset:5760
	s_wait_dscnt 0x0
	v_fma_f64 v[174:175], v[141:142], -0.5, v[137:138]
	v_add_f64_e32 v[141:142], v[66:67], v[74:75]
	v_add_f64_e32 v[137:138], v[137:138], v[64:65]
	v_add_f64_e64 v[64:65], v[64:65], -v[72:73]
	s_delay_alu instid0(VALU_DEP_3) | instskip(NEXT) | instid1(VALU_DEP_3)
	v_fma_f64 v[176:177], v[141:142], -0.5, v[139:140]
	v_add_f64_e32 v[141:142], v[137:138], v[72:73]
	v_add_f64_e32 v[137:138], v[60:61], v[70:71]
	;; [unrolled: 1-line block ×3, first 2 shown]
	v_add_f64_e64 v[66:67], v[66:67], -v[74:75]
	v_fma_f64 v[72:73], v[64:65], s[28:29], v[176:177]
	v_fma_f64 v[64:65], v[64:65], s[26:27], v[176:177]
	v_add_f64_e32 v[145:146], v[137:138], v[78:79]
	v_add_f64_e32 v[137:138], v[62:63], v[68:69]
	v_add_f64_e32 v[143:144], v[139:140], v[74:75]
	v_add_f64_e64 v[74:75], v[90:91], -v[98:99]
	s_delay_alu instid0(VALU_DEP_3) | instskip(SKIP_2) | instid1(VALU_DEP_3)
	v_add_f64_e32 v[147:148], v[137:138], v[76:77]
	v_add_f64_e32 v[137:138], v[141:142], v[145:146]
	v_add_f64_e64 v[141:142], v[141:142], -v[145:146]
	v_add_f64_e32 v[139:140], v[143:144], v[147:148]
	v_add_f64_e64 v[143:144], v[143:144], -v[147:148]
	ds_load_b128 v[145:148], v20 offset:7680
	global_wb scope:SCOPE_SE
	s_wait_storecnt_dscnt 0x0
	s_barrier_signal -1
	s_barrier_wait -1
	global_inv scope:SCOPE_SE
	ds_store_b128 v108, v[113:116]
	ds_store_b128 v108, v[117:120] offset:4800
	v_add_f64_e32 v[113:114], v[10:11], v[22:23]
	v_add_f64_e64 v[10:11], v[10:11], -v[22:23]
	v_add_f64_e32 v[21:22], v[8:9], v[18:19]
	v_add_f64_e64 v[8:9], v[8:9], -v[18:19]
	v_fma_f64 v[115:116], v[12:13], s[28:29], v[152:153]
	scratch_store_b32 off, v108, off offset:1408 ; 4-byte Folded Spill
	v_fma_f64 v[178:179], v[156:157], -0.5, v[145:146]
	v_add_f64_e32 v[156:157], v[86:87], v[94:95]
	v_add_f64_e32 v[145:146], v[145:146], v[84:85]
	v_fma_f64 v[18:19], v[113:114], -0.5, v[0:1]
	v_fma_f64 v[113:114], v[14:15], s[26:27], v[106:107]
	v_fma_f64 v[21:22], v[21:22], -0.5, v[2:3]
	v_fma_f64 v[14:15], v[14:15], s[28:29], v[106:107]
	v_fma_f64 v[180:181], v[156:157], -0.5, v[147:148]
	v_add_f64_e32 v[156:157], v[80:81], v[90:91]
	v_add_f64_e32 v[147:148], v[147:148], v[86:87]
	;; [unrolled: 1-line block ×3, first 2 shown]
	v_fma_f64 v[2:3], v[8:9], s[26:27], v[18:19]
	v_fma_f64 v[8:9], v[8:9], s[28:29], v[18:19]
	;; [unrolled: 1-line block ×5, first 2 shown]
	v_add_f64_e32 v[160:161], v[156:157], v[98:99]
	v_add_f64_e32 v[156:157], v[82:83], v[88:89]
	v_add_f64_e32 v[147:148], v[147:148], v[94:95]
	v_mul_f64_e32 v[12:13], -0.5, v[8:9]
	v_mul_f64_e32 v[4:5], s[26:27], v[0:1]
	s_delay_alu instid0(VALU_DEP_4)
	v_add_f64_e32 v[162:163], v[156:157], v[96:97]
	v_add_f64_e32 v[156:157], v[145:146], v[160:161]
	v_add_f64_e64 v[160:161], v[145:146], -v[160:161]
	v_fma_f64 v[12:13], v[10:11], s[26:27], v[12:13]
	v_mul_f64_e32 v[10:11], -0.5, v[10:11]
	v_fma_f64 v[4:5], v[2:3], 0.5, v[4:5]
	v_mul_f64_e32 v[2:3], s[28:29], v[2:3]
	v_add_f64_e32 v[158:159], v[147:148], v[162:163]
	v_add_f64_e64 v[162:163], v[147:148], -v[162:163]
	v_fma_f64 v[21:22], v[8:9], s[28:29], v[10:11]
	v_add_f64_e32 v[8:9], v[14:15], v[12:13]
	v_add_f64_e64 v[12:13], v[14:15], -v[12:13]
	v_fma_f64 v[6:7], v[0:1], 0.5, v[2:3]
	v_add_f64_e32 v[0:1], v[113:114], v[4:5]
	v_add_f64_e64 v[4:5], v[113:114], -v[4:5]
	v_add_f64_e32 v[10:11], v[18:19], v[21:22]
	v_add_f64_e64 v[14:15], v[18:19], -v[21:22]
	v_add_f64_e32 v[18:19], v[30:31], v[38:39]
	v_add_f64_e32 v[21:22], v[28:29], v[36:37]
	v_add_f64_e64 v[30:31], v[30:31], -v[38:39]
	v_add_f64_e64 v[28:29], v[28:29], -v[36:37]
	v_fma_f64 v[36:37], v[26:27], s[26:27], v[164:165]
	v_add_f64_e32 v[2:3], v[115:116], v[6:7]
	v_add_f64_e64 v[6:7], v[115:116], -v[6:7]
	ds_store_b128 v108, v[0:3] offset:1600
	ds_store_b128 v108, v[8:11] offset:3200
	ds_store_b128 v108, v[4:7] offset:6400
	ds_store_b128 v108, v[12:15] offset:8000
	v_fma_f64 v[38:39], v[21:22], -0.5, v[100:101]
	v_fma_f64 v[34:35], v[18:19], -0.5, v[16:17]
	v_fma_f64 v[100:101], v[32:33], s[28:29], v[166:167]
	v_fma_f64 v[32:33], v[32:33], s[26:27], v[166:167]
	v_and_b32_e32 v0, 0xffff, v102
	v_mad_co_u64_u32 v[8:9], null, 0x50, v221, s[10:11]
	s_delay_alu instid0(VALU_DEP_2) | instskip(NEXT) | instid1(VALU_DEP_1)
	v_mul_u32_u24_e32 v0, 0x258, v0
	v_add_lshl_u32 v0, v0, v103, 4
	scratch_store_b32 off, v0, off offset:1404 ; 4-byte Folded Spill
	v_fma_f64 v[16:17], v[30:31], s[28:29], v[38:39]
	v_fma_f64 v[18:19], v[28:29], s[26:27], v[34:35]
	;; [unrolled: 1-line block ×5, first 2 shown]
	v_mul_f64_e32 v[21:22], s[26:27], v[16:17]
	s_delay_alu instid0(VALU_DEP_4) | instskip(NEXT) | instid1(VALU_DEP_2)
	v_mul_f64_e32 v[30:31], -0.5, v[28:29]
	v_fma_f64 v[21:22], v[18:19], 0.5, v[21:22]
	v_mul_f64_e32 v[18:19], s[28:29], v[18:19]
	s_delay_alu instid0(VALU_DEP_3) | instskip(SKIP_1) | instid1(VALU_DEP_3)
	v_fma_f64 v[30:31], v[26:27], s[26:27], v[30:31]
	v_mul_f64_e32 v[26:27], -0.5, v[26:27]
	v_fma_f64 v[24:25], v[16:17], 0.5, v[18:19]
	v_add_f64_e32 v[16:17], v[36:37], v[21:22]
	v_add_f64_e64 v[22:23], v[36:37], -v[21:22]
	s_delay_alu instid0(VALU_DEP_4)
	v_fma_f64 v[36:37], v[28:29], s[28:29], v[26:27]
	v_add_f64_e32 v[26:27], v[34:35], v[30:31]
	v_add_f64_e64 v[30:31], v[34:35], -v[30:31]
	v_add_f64_e32 v[34:35], v[50:51], v[58:59]
	v_add_f64_e64 v[50:51], v[50:51], -v[58:59]
	v_add_f64_e64 v[58:59], v[70:71], -v[78:79]
	v_add_f64_e32 v[18:19], v[100:101], v[24:25]
	v_add_f64_e64 v[24:25], v[100:101], -v[24:25]
	v_add_f64_e32 v[28:29], v[32:33], v[36:37]
	;; [unrolled: 2-line block ×3, first 2 shown]
	v_add_f64_e64 v[48:49], v[48:49], -v[56:57]
	v_fma_f64 v[52:53], v[34:35], -0.5, v[40:41]
	v_fma_f64 v[56:57], v[44:45], s[28:29], v[172:173]
	ds_store_b128 v0, v[121:124]
	ds_store_b128 v0, v[16:19] offset:1600
	ds_store_b128 v0, v[26:29] offset:3200
	ds_store_b128 v0, v[125:128] offset:4800
	ds_store_b128 v0, v[22:25] offset:6400
	ds_store_b128 v0, v[30:33] offset:8000
	v_mad_u16 v0, 0x258, v104, v105
	v_fma_f64 v[42:43], v[36:37], -0.5, v[42:43]
	v_fma_f64 v[36:37], v[48:49], s[26:27], v[52:53]
	v_fma_f64 v[48:49], v[48:49], s[28:29], v[52:53]
	;; [unrolled: 1-line block ×3, first 2 shown]
	v_and_b32_e32 v0, 0xffff, v0
	s_delay_alu instid0(VALU_DEP_1) | instskip(SKIP_4) | instid1(VALU_DEP_3)
	v_lshlrev_b32_e32 v0, 4, v0
	scratch_store_b32 off, v0, off offset:1400 ; 4-byte Folded Spill
	v_fma_f64 v[34:35], v[50:51], s[28:29], v[42:43]
	v_fma_f64 v[42:43], v[50:51], s[26:27], v[42:43]
	v_mul_f64_e32 v[44:45], -0.5, v[48:49]
	v_mul_f64_e32 v[38:39], s[26:27], v[34:35]
	s_delay_alu instid0(VALU_DEP_2) | instskip(SKIP_1) | instid1(VALU_DEP_3)
	v_fma_f64 v[50:51], v[42:43], s[26:27], v[44:45]
	v_mul_f64_e32 v[42:43], -0.5, v[42:43]
	v_fma_f64 v[38:39], v[36:37], 0.5, v[38:39]
	v_mul_f64_e32 v[36:37], s[28:29], v[36:37]
	s_delay_alu instid0(VALU_DEP_3)
	v_fma_f64 v[48:49], v[48:49], s[28:29], v[42:43]
	v_add_f64_e32 v[42:43], v[46:47], v[50:51]
	v_add_f64_e64 v[46:47], v[46:47], -v[50:51]
	v_add_f64_e32 v[50:51], v[70:71], v[78:79]
	v_fma_f64 v[70:71], v[66:67], s[26:27], v[174:175]
	v_fma_f64 v[66:67], v[66:67], s[28:29], v[174:175]
	v_add_f64_e64 v[78:79], v[86:87], -v[94:95]
	v_fma_f64 v[40:41], v[34:35], 0.5, v[36:37]
	v_add_f64_e32 v[34:35], v[54:55], v[38:39]
	v_add_f64_e64 v[38:39], v[54:55], -v[38:39]
	v_add_f64_e32 v[44:45], v[52:53], v[48:49]
	v_add_f64_e64 v[48:49], v[52:53], -v[48:49]
	;; [unrolled: 2-line block ×3, first 2 shown]
	v_fma_f64 v[60:61], v[50:51], -0.5, v[60:61]
	v_fma_f64 v[86:87], v[78:79], s[26:27], v[178:179]
	v_fma_f64 v[78:79], v[78:79], s[28:29], v[178:179]
	v_add_f64_e32 v[36:37], v[56:57], v[40:41]
	v_add_f64_e64 v[40:41], v[56:57], -v[40:41]
	ds_store_b128 v0, v[129:132]
	ds_store_b128 v0, v[34:37] offset:1600
	ds_store_b128 v0, v[42:45] offset:3200
	;; [unrolled: 1-line block ×5, first 2 shown]
	v_fma_f64 v[62:63], v[52:53], -0.5, v[62:63]
	v_fma_f64 v[52:53], v[68:69], s[26:27], v[60:61]
	v_fma_f64 v[60:61], v[68:69], s[28:29], v[60:61]
	v_mad_u16 v0, 0x258, v109, v110
	s_delay_alu instid0(VALU_DEP_1) | instskip(NEXT) | instid1(VALU_DEP_1)
	v_and_b32_e32 v0, 0xffff, v0
	v_lshlrev_b32_e32 v0, 4, v0
	scratch_store_b32 off, v0, off offset:1396 ; 4-byte Folded Spill
	v_fma_f64 v[50:51], v[58:59], s[28:29], v[62:63]
	v_fma_f64 v[58:59], v[58:59], s[26:27], v[62:63]
	v_mul_f64_e32 v[62:63], -0.5, v[60:61]
	s_delay_alu instid0(VALU_DEP_3) | instskip(NEXT) | instid1(VALU_DEP_2)
	v_mul_f64_e32 v[54:55], s[26:27], v[50:51]
	v_fma_f64 v[62:63], v[58:59], s[26:27], v[62:63]
	v_mul_f64_e32 v[58:59], -0.5, v[58:59]
	s_delay_alu instid0(VALU_DEP_3) | instskip(SKIP_1) | instid1(VALU_DEP_3)
	v_fma_f64 v[54:55], v[52:53], 0.5, v[54:55]
	v_mul_f64_e32 v[52:53], s[28:29], v[52:53]
	v_fma_f64 v[68:69], v[60:61], s[28:29], v[58:59]
	v_add_f64_e32 v[58:59], v[66:67], v[62:63]
	v_add_f64_e64 v[62:63], v[66:67], -v[62:63]
	v_add_f64_e32 v[66:67], v[90:91], v[98:99]
	v_fma_f64 v[56:57], v[50:51], 0.5, v[52:53]
	v_add_f64_e32 v[50:51], v[70:71], v[54:55]
	v_add_f64_e32 v[60:61], v[64:65], v[68:69]
	v_add_f64_e64 v[64:65], v[64:65], -v[68:69]
	v_add_f64_e32 v[68:69], v[88:89], v[96:97]
	v_fma_f64 v[80:81], v[66:67], -0.5, v[80:81]
	v_add_f64_e64 v[54:55], v[70:71], -v[54:55]
	v_add_f64_e32 v[52:53], v[72:73], v[56:57]
	v_add_f64_e64 v[56:57], v[72:73], -v[56:57]
	ds_store_b128 v0, v[137:140]
	ds_store_b128 v0, v[50:53] offset:1600
	ds_store_b128 v0, v[58:61] offset:3200
	;; [unrolled: 1-line block ×5, first 2 shown]
	v_fma_f64 v[76:77], v[68:69], -0.5, v[82:83]
	v_add_f64_e64 v[82:83], v[84:85], -v[92:93]
	v_add_f64_e64 v[84:85], v[88:89], -v[96:97]
	v_mad_u16 v0, 0x258, v111, v112
	s_delay_alu instid0(VALU_DEP_1) | instskip(NEXT) | instid1(VALU_DEP_1)
	v_and_b32_e32 v0, 0xffff, v0
	v_lshlrev_b32_e32 v0, 4, v0
	scratch_store_b32 off, v0, off offset:1328 ; 4-byte Folded Spill
	v_fma_f64 v[66:67], v[74:75], s[28:29], v[76:77]
	v_fma_f64 v[74:75], v[74:75], s[26:27], v[76:77]
	;; [unrolled: 1-line block ×6, first 2 shown]
	v_mul_f64_e32 v[70:71], s[26:27], v[66:67]
	s_delay_alu instid0(VALU_DEP_4) | instskip(NEXT) | instid1(VALU_DEP_2)
	v_mul_f64_e32 v[76:77], -0.5, v[80:81]
	v_fma_f64 v[70:71], v[68:69], 0.5, v[70:71]
	v_mul_f64_e32 v[68:69], s[28:29], v[68:69]
	s_delay_alu instid0(VALU_DEP_3) | instskip(SKIP_1) | instid1(VALU_DEP_3)
	v_fma_f64 v[84:85], v[74:75], s[26:27], v[76:77]
	v_mul_f64_e32 v[74:75], -0.5, v[74:75]
	v_fma_f64 v[72:73], v[66:67], 0.5, v[68:69]
	v_add_f64_e32 v[66:67], v[86:87], v[70:71]
	v_add_f64_e64 v[70:71], v[86:87], -v[70:71]
	s_delay_alu instid0(VALU_DEP_4)
	v_fma_f64 v[80:81], v[80:81], s[28:29], v[74:75]
	v_add_f64_e32 v[74:75], v[78:79], v[84:85]
	v_add_f64_e64 v[78:79], v[78:79], -v[84:85]
	v_add_f64_e32 v[68:69], v[88:89], v[72:73]
	v_add_f64_e64 v[72:73], v[88:89], -v[72:73]
	;; [unrolled: 2-line block ×3, first 2 shown]
	ds_store_b128 v0, v[156:159]
	ds_store_b128 v0, v[66:69] offset:1600
	ds_store_b128 v0, v[74:77] offset:3200
	;; [unrolled: 1-line block ×5, first 2 shown]
	global_wb scope:SCOPE_SE
	s_wait_storecnt_dscnt 0x0
	s_barrier_signal -1
	s_barrier_wait -1
	global_inv scope:SCOPE_SE
	s_clause 0x1
	global_load_b128 v[12:15], v[8:9], off offset:9440
	global_load_b128 v[252:255], v[8:9], off offset:9456
	ds_load_b128 v[0:3], v20 offset:9600
	s_clause 0x13
	global_load_b128 v[248:251], v[8:9], off offset:19040
	global_load_b128 v[240:243], v[8:9], off offset:19056
	;; [unrolled: 1-line block ×20, first 2 shown]
	ds_load_b128 v[90:93], v20 offset:46080
	ds_load_b128 v[98:101], v20 offset:3840
	s_wait_loadcnt_dscnt 0x1502
	v_mul_f64_e32 v[4:5], v[2:3], v[14:15]
	scratch_store_b128 off, v[12:15], off offset:1364 ; 16-byte Folded Spill
	v_fma_f64 v[10:11], v[0:1], v[12:13], -v[4:5]
	v_mul_f64_e32 v[0:1], v[0:1], v[14:15]
	ds_load_b128 v[4:7], v20 offset:19200
	v_fma_f64 v[128:129], v[2:3], v[12:13], v[0:1]
	global_load_b128 v[12:15], v[8:9], off offset:9472
	s_wait_loadcnt_dscnt 0x1500
	v_mul_f64_e32 v[0:1], v[6:7], v[254:255]
	s_delay_alu instid0(VALU_DEP_1) | instskip(SKIP_1) | instid1(VALU_DEP_1)
	v_fma_f64 v[122:123], v[4:5], v[252:253], -v[0:1]
	v_mul_f64_e32 v[0:1], v[4:5], v[254:255]
	v_fma_f64 v[118:119], v[6:7], v[252:253], v[0:1]
	ds_load_b128 v[4:7], v20 offset:28800
	s_wait_loadcnt_dscnt 0x0
	v_mul_f64_e32 v[0:1], v[6:7], v[14:15]
	scratch_store_b128 off, v[12:15], off offset:1348 ; 16-byte Folded Spill
	v_fma_f64 v[120:121], v[4:5], v[12:13], -v[0:1]
	v_mul_f64_e32 v[0:1], v[4:5], v[14:15]
	s_delay_alu instid0(VALU_DEP_1)
	v_fma_f64 v[106:107], v[6:7], v[12:13], v[0:1]
	global_load_b128 v[12:15], v[8:9], off offset:9488
	ds_load_b128 v[4:7], v20 offset:38400
	s_wait_loadcnt_dscnt 0x0
	v_mul_f64_e32 v[0:1], v[6:7], v[14:15]
	scratch_store_b128 off, v[12:15], off offset:1332 ; 16-byte Folded Spill
	v_fma_f64 v[94:95], v[4:5], v[12:13], -v[0:1]
	v_mul_f64_e32 v[0:1], v[4:5], v[14:15]
	s_delay_alu instid0(VALU_DEP_1)
	v_fma_f64 v[84:85], v[6:7], v[12:13], v[0:1]
	global_load_b128 v[12:15], v[8:9], off offset:9504
	ds_load_b128 v[4:7], v20 offset:48000
	s_wait_loadcnt_dscnt 0x0
	v_mul_f64_e32 v[0:1], v[6:7], v[14:15]
	scratch_store_b128 off, v[12:15], off offset:1380 ; 16-byte Folded Spill
	v_fma_f64 v[86:87], v[4:5], v[12:13], -v[0:1]
	v_mul_f64_e32 v[0:1], v[4:5], v[14:15]
	s_delay_alu instid0(VALU_DEP_1) | instskip(SKIP_3) | instid1(VALU_DEP_1)
	v_fma_f64 v[96:97], v[6:7], v[12:13], v[0:1]
	ds_load_b128 v[4:7], v20 offset:11520
	s_wait_dscnt 0x0
	v_mul_f64_e32 v[0:1], v[6:7], v[250:251]
	v_fma_f64 v[168:169], v[4:5], v[248:249], -v[0:1]
	v_mul_f64_e32 v[0:1], v[4:5], v[250:251]
	s_delay_alu instid0(VALU_DEP_1) | instskip(SKIP_3) | instid1(VALU_DEP_1)
	v_fma_f64 v[126:127], v[6:7], v[248:249], v[0:1]
	ds_load_b128 v[4:7], v20 offset:21120
	s_wait_dscnt 0x0
	v_mul_f64_e32 v[0:1], v[6:7], v[242:243]
	;; [unrolled: 7-line block ×18, first 2 shown]
	v_fma_f64 v[112:113], v[4:5], v[162:163], -v[0:1]
	v_mul_f64_e32 v[0:1], v[4:5], v[164:165]
	v_add_f64_e32 v[4:5], v[10:11], v[120:121]
	s_delay_alu instid0(VALU_DEP_2) | instskip(SKIP_2) | instid1(VALU_DEP_4)
	v_fma_f64 v[140:141], v[6:7], v[162:163], v[0:1]
	v_mul_f64_e32 v[0:1], v[92:93], v[178:179]
	v_add_f64_e32 v[6:7], v[128:129], v[106:107]
	v_add_f64_e32 v[4:5], v[4:5], v[86:87]
	s_delay_alu instid0(VALU_DEP_4) | instskip(NEXT) | instid1(VALU_DEP_4)
	v_add_f64_e32 v[8:9], v[23:24], v[140:141]
	v_fma_f64 v[102:103], v[90:91], v[176:177], -v[0:1]
	v_mul_f64_e32 v[0:1], v[90:91], v[178:179]
	v_add_f64_e32 v[6:7], v[6:7], v[96:97]
	s_delay_alu instid0(VALU_DEP_2) | instskip(SKIP_3) | instid1(VALU_DEP_1)
	v_fma_f64 v[110:111], v[92:93], v[176:177], v[0:1]
	ds_load_b128 v[90:93], v20 offset:55680
	s_wait_dscnt 0x0
	v_mul_f64_e32 v[0:1], v[92:93], v[202:203]
	v_fma_f64 v[108:109], v[90:91], v[200:201], -v[0:1]
	v_mul_f64_e32 v[0:1], v[90:91], v[202:203]
	s_delay_alu instid0(VALU_DEP_1)
	v_fma_f64 v[104:105], v[92:93], v[200:201], v[0:1]
	v_add_f64_e32 v[0:1], v[122:123], v[94:95]
	ds_load_b128 v[90:93], v20
	s_wait_dscnt 0x0
	v_add_f64_e32 v[2:3], v[92:93], v[118:119]
	v_add_f64_e32 v[8:9], v[8:9], v[104:105]
	v_fma_f64 v[37:38], v[0:1], -0.5, v[90:91]
	v_add_f64_e32 v[0:1], v[118:119], v[84:85]
	v_add_f64_e64 v[118:119], v[118:119], -v[84:85]
	v_add_f64_e32 v[2:3], v[2:3], v[84:85]
	s_delay_alu instid0(VALU_DEP_3) | instskip(SKIP_2) | instid1(VALU_DEP_4)
	v_fma_f64 v[146:147], v[0:1], -0.5, v[92:93]
	v_add_f64_e32 v[0:1], v[90:91], v[122:123]
	v_add_f64_e64 v[122:123], v[122:123], -v[94:95]
	v_add_f64_e32 v[92:93], v[2:3], v[6:7]
	v_add_f64_e64 v[144:145], v[2:3], -v[6:7]
	v_add_f64_e32 v[6:7], v[126:127], v[116:117]
	v_add_f64_e32 v[0:1], v[0:1], v[94:95]
	s_delay_alu instid0(VALU_DEP_2) | instskip(NEXT) | instid1(VALU_DEP_2)
	v_add_f64_e32 v[6:7], v[6:7], v[40:41]
	v_add_f64_e32 v[90:91], v[0:1], v[4:5]
	v_add_f64_e64 v[142:143], v[0:1], -v[4:5]
	v_add_f64_e32 v[4:5], v[88:89], v[60:61]
	ds_load_b128 v[0:3], v20 offset:1920
	s_wait_dscnt 0x0
	v_fma_f64 v[33:34], v[4:5], -0.5, v[0:1]
	v_add_f64_e32 v[4:5], v[62:63], v[44:45]
	v_add_f64_e32 v[0:1], v[0:1], v[88:89]
	s_delay_alu instid0(VALU_DEP_2) | instskip(SKIP_1) | instid1(VALU_DEP_3)
	v_fma_f64 v[29:30], v[4:5], -0.5, v[2:3]
	v_add_f64_e32 v[4:5], v[168:169], v[46:47]
	v_add_f64_e32 v[0:1], v[0:1], v[60:61]
	;; [unrolled: 1-line block ×3, first 2 shown]
	v_add_f64_e64 v[60:61], v[88:89], -v[60:61]
	v_add_f64_e64 v[88:89], v[116:117], -v[40:41]
	;; [unrolled: 1-line block ×3, first 2 shown]
	v_add_f64_e32 v[4:5], v[4:5], v[42:43]
	v_add_f64_e32 v[2:3], v[2:3], v[44:45]
	s_delay_alu instid0(VALU_DEP_2)
	v_add_f64_e32 v[130:131], v[0:1], v[4:5]
	v_add_f64_e64 v[25:26], v[0:1], -v[4:5]
	v_add_f64_e32 v[0:1], v[48:49], v[56:57]
	v_add_f64_e32 v[4:5], v[156:157], v[54:55]
	v_add_f64_e32 v[132:133], v[2:3], v[6:7]
	v_add_f64_e64 v[27:28], v[2:3], -v[6:7]
	v_add_f64_e32 v[2:3], v[100:101], v[50:51]
	v_add_f64_e32 v[6:7], v[124:125], v[52:53]
	v_fma_f64 v[206:207], v[0:1], -0.5, v[98:99]
	v_add_f64_e32 v[0:1], v[50:51], v[58:59]
	v_add_f64_e32 v[4:5], v[4:5], v[68:69]
	;; [unrolled: 1-line block ×4, first 2 shown]
	s_delay_alu instid0(VALU_DEP_4) | instskip(SKIP_1) | instid1(VALU_DEP_3)
	v_fma_f64 v[21:22], v[0:1], -0.5, v[100:101]
	v_add_f64_e32 v[0:1], v[98:99], v[48:49]
	v_add_f64_e32 v[100:101], v[2:3], v[6:7]
	v_add_f64_e64 v[150:151], v[2:3], -v[6:7]
	v_add_f64_e32 v[6:7], v[35:36], v[72:73]
	s_delay_alu instid0(VALU_DEP_4) | instskip(SKIP_1) | instid1(VALU_DEP_3)
	v_add_f64_e32 v[0:1], v[0:1], v[56:57]
	v_add_f64_e64 v[56:57], v[48:49], -v[56:57]
	v_add_f64_e32 v[6:7], v[6:7], v[80:81]
	s_delay_alu instid0(VALU_DEP_3)
	v_add_f64_e32 v[98:99], v[0:1], v[4:5]
	v_add_f64_e64 v[148:149], v[0:1], -v[4:5]
	v_add_f64_e32 v[4:5], v[66:67], v[76:77]
	ds_load_b128 v[0:3], v20 offset:5760
	s_wait_dscnt 0x0
	v_fma_f64 v[12:13], v[4:5], -0.5, v[0:1]
	v_add_f64_e32 v[4:5], v[70:71], v[78:79]
	v_add_f64_e32 v[0:1], v[0:1], v[66:67]
	s_delay_alu instid0(VALU_DEP_2) | instskip(SKIP_2) | instid1(VALU_DEP_4)
	v_fma_f64 v[210:211], v[4:5], -0.5, v[2:3]
	v_add_f64_e32 v[2:3], v[2:3], v[70:71]
	v_add_f64_e32 v[4:5], v[31:32], v[74:75]
	;; [unrolled: 1-line block ×3, first 2 shown]
	s_delay_alu instid0(VALU_DEP_3) | instskip(NEXT) | instid1(VALU_DEP_3)
	v_add_f64_e32 v[2:3], v[2:3], v[78:79]
	v_add_f64_e32 v[4:5], v[4:5], v[82:83]
	s_delay_alu instid0(VALU_DEP_2) | instskip(NEXT) | instid1(VALU_DEP_2)
	v_add_f64_e32 v[18:19], v[2:3], v[6:7]
	v_add_f64_e32 v[16:17], v[0:1], v[4:5]
	v_add_f64_e64 v[134:135], v[0:1], -v[4:5]
	v_add_f64_e64 v[136:137], v[2:3], -v[6:7]
	v_add_f64_e32 v[4:5], v[138:139], v[102:103]
	v_add_f64_e32 v[6:7], v[114:115], v[110:111]
	ds_load_b128 v[0:3], v20 offset:7680
	s_wait_dscnt 0x0
	v_fma_f64 v[4:5], v[4:5], -0.5, v[0:1]
	v_fma_f64 v[166:167], v[6:7], -0.5, v[2:3]
	v_add_f64_e32 v[0:1], v[0:1], v[138:139]
	v_add_f64_e32 v[2:3], v[2:3], v[114:115]
	;; [unrolled: 1-line block ×3, first 2 shown]
	s_delay_alu instid0(VALU_DEP_3) | instskip(NEXT) | instid1(VALU_DEP_3)
	v_add_f64_e32 v[0:1], v[0:1], v[102:103]
	v_add_f64_e32 v[2:3], v[2:3], v[110:111]
	s_delay_alu instid0(VALU_DEP_3) | instskip(NEXT) | instid1(VALU_DEP_2)
	v_add_f64_e32 v[6:7], v[6:7], v[108:109]
	v_add_f64_e32 v[154:155], v[2:3], v[8:9]
	s_delay_alu instid0(VALU_DEP_2)
	v_add_f64_e32 v[152:153], v[0:1], v[6:7]
	v_add_f64_e64 v[6:7], v[0:1], -v[6:7]
	v_add_f64_e64 v[8:9], v[2:3], -v[8:9]
	v_add_f64_e32 v[0:1], v[120:121], v[86:87]
	v_add_f64_e64 v[2:3], v[120:121], -v[86:87]
	v_add_f64_e32 v[86:87], v[106:107], v[96:97]
	v_add_f64_e64 v[106:107], v[106:107], -v[96:97]
	v_fma_f64 v[96:97], v[118:119], s[26:27], v[37:38]
	v_fma_f64 v[0:1], v[0:1], -0.5, v[10:11]
	s_delay_alu instid0(VALU_DEP_4) | instskip(SKIP_1) | instid1(VALU_DEP_3)
	v_fma_f64 v[120:121], v[86:87], -0.5, v[128:129]
	v_fma_f64 v[128:129], v[122:123], s[28:29], v[146:147]
	v_fma_f64 v[84:85], v[106:107], s[26:27], v[0:1]
	;; [unrolled: 1-line block ×3, first 2 shown]
	s_delay_alu instid0(VALU_DEP_4) | instskip(SKIP_1) | instid1(VALU_DEP_3)
	v_fma_f64 v[10:11], v[2:3], s[28:29], v[120:121]
	v_fma_f64 v[2:3], v[2:3], s[26:27], v[120:121]
	v_mul_f64_e32 v[106:107], -0.5, v[0:1]
	s_delay_alu instid0(VALU_DEP_3) | instskip(NEXT) | instid1(VALU_DEP_2)
	v_mul_f64_e32 v[86:87], s[26:27], v[10:11]
	v_fma_f64 v[106:107], v[2:3], s[26:27], v[106:107]
	s_delay_alu instid0(VALU_DEP_2) | instskip(SKIP_2) | instid1(VALU_DEP_2)
	v_fma_f64 v[94:95], v[84:85], 0.5, v[86:87]
	v_mul_f64_e32 v[84:85], s[28:29], v[84:85]
	v_mul_f64_e32 v[2:3], -0.5, v[2:3]
	v_fma_f64 v[10:11], v[10:11], 0.5, v[84:85]
	s_delay_alu instid0(VALU_DEP_4) | instskip(SKIP_1) | instid1(VALU_DEP_4)
	v_add_f64_e32 v[84:85], v[96:97], v[94:95]
	v_add_f64_e64 v[94:95], v[96:97], -v[94:95]
	v_fma_f64 v[120:121], v[0:1], s[28:29], v[2:3]
	s_delay_alu instid0(VALU_DEP_4)
	v_add_f64_e32 v[86:87], v[128:129], v[10:11]
	v_add_f64_e64 v[96:97], v[128:129], -v[10:11]
	v_fma_f64 v[10:11], v[118:119], s[28:29], v[37:38]
	v_fma_f64 v[37:38], v[122:123], s[26:27], v[146:147]
	;; [unrolled: 1-line block ×4, first 2 shown]
	s_delay_alu instid0(VALU_DEP_4)
	v_add_f64_e32 v[0:1], v[10:11], v[106:107]
	v_add_f64_e64 v[118:119], v[10:11], -v[106:107]
	v_add_f64_e32 v[10:11], v[46:47], v[42:43]
	v_add_f64_e32 v[2:3], v[37:38], v[120:121]
	v_add_f64_e64 v[120:121], v[37:38], -v[120:121]
	v_add_f64_e32 v[37:38], v[116:117], v[40:41]
	v_add_f64_e64 v[46:47], v[46:47], -v[42:43]
	v_fma_f64 v[116:117], v[62:63], s[26:27], v[33:34]
	v_fma_f64 v[33:34], v[62:63], s[28:29], v[33:34]
	v_fma_f64 v[10:11], v[10:11], -0.5, v[168:169]
	v_fma_f64 v[106:107], v[37:38], -0.5, v[126:127]
	s_delay_alu instid0(VALU_DEP_2) | instskip(SKIP_1) | instid1(VALU_DEP_3)
	v_fma_f64 v[39:40], v[88:89], s[26:27], v[10:11]
	v_fma_f64 v[10:11], v[88:89], s[28:29], v[10:11]
	;; [unrolled: 1-line block ×4, first 2 shown]
	s_delay_alu instid0(VALU_DEP_3) | instskip(NEXT) | instid1(VALU_DEP_3)
	v_mul_f64_e32 v[60:61], -0.5, v[10:11]
	v_mul_f64_e32 v[41:42], s[26:27], v[37:38]
	s_delay_alu instid0(VALU_DEP_2) | instskip(SKIP_1) | instid1(VALU_DEP_3)
	v_fma_f64 v[88:89], v[45:46], s[26:27], v[60:61]
	v_mul_f64_e32 v[45:46], -0.5, v[45:46]
	v_fma_f64 v[41:42], v[39:40], 0.5, v[41:42]
	v_mul_f64_e32 v[39:40], s[28:29], v[39:40]
	s_delay_alu instid0(VALU_DEP_4) | instskip(NEXT) | instid1(VALU_DEP_4)
	v_add_f64_e32 v[60:61], v[33:34], v[88:89]
	v_fma_f64 v[10:11], v[10:11], s[28:29], v[45:46]
	v_add_f64_e64 v[126:127], v[33:34], -v[88:89]
	v_add_f64_e32 v[33:34], v[52:53], v[64:65]
	v_fma_f64 v[43:44], v[37:38], 0.5, v[39:40]
	v_add_f64_e32 v[37:38], v[116:117], v[41:42]
	v_add_f64_e64 v[41:42], v[116:117], -v[41:42]
	v_add_f64_e32 v[62:63], v[29:30], v[10:11]
	v_add_f64_e64 v[128:129], v[29:30], -v[10:11]
	v_add_f64_e32 v[10:11], v[54:55], v[68:69]
	v_add_f64_e64 v[29:30], v[54:55], -v[68:69]
	v_add_f64_e64 v[54:55], v[50:51], -v[58:59]
	v_add_f64_e64 v[58:59], v[52:53], -v[64:65]
	v_fma_f64 v[33:34], v[33:34], -0.5, v[124:125]
	v_fma_f64 v[68:69], v[56:57], s[28:29], v[21:22]
	v_fma_f64 v[21:22], v[56:57], s[26:27], v[21:22]
	v_add_f64_e32 v[39:40], v[122:123], v[43:44]
	v_add_f64_e64 v[43:44], v[122:123], -v[43:44]
	v_fma_f64 v[10:11], v[10:11], -0.5, v[156:157]
	v_fma_f64 v[64:65], v[54:55], s[26:27], v[206:207]
	v_fma_f64 v[45:46], v[29:30], s[28:29], v[33:34]
	;; [unrolled: 1-line block ×3, first 2 shown]
	s_delay_alu instid0(VALU_DEP_4) | instskip(SKIP_3) | instid1(VALU_DEP_3)
	v_fma_f64 v[47:48], v[58:59], s[26:27], v[10:11]
	v_fma_f64 v[10:11], v[58:59], s[28:29], v[10:11]
	;; [unrolled: 1-line block ×3, first 2 shown]
	v_mul_f64_e32 v[49:50], s[26:27], v[45:46]
	v_mul_f64_e32 v[33:34], -0.5, v[10:11]
	s_delay_alu instid0(VALU_DEP_2) | instskip(SKIP_1) | instid1(VALU_DEP_3)
	v_fma_f64 v[49:50], v[47:48], 0.5, v[49:50]
	v_mul_f64_e32 v[47:48], s[28:29], v[47:48]
	v_fma_f64 v[33:34], v[29:30], s[26:27], v[33:34]
	v_mul_f64_e32 v[29:30], -0.5, v[29:30]
	s_delay_alu instid0(VALU_DEP_3)
	v_fma_f64 v[51:52], v[45:46], 0.5, v[47:48]
	v_add_f64_e32 v[45:46], v[64:65], v[49:50]
	v_add_f64_e64 v[49:50], v[64:65], -v[49:50]
	v_add_f64_e32 v[53:54], v[58:59], v[33:34]
	v_fma_f64 v[10:11], v[10:11], s[28:29], v[29:30]
	v_add_f64_e32 v[29:30], v[72:73], v[80:81]
	v_add_f64_e64 v[122:123], v[58:59], -v[33:34]
	v_add_f64_e64 v[57:58], v[72:73], -v[80:81]
	v_add_f64_e32 v[47:48], v[68:69], v[51:52]
	v_add_f64_e64 v[51:52], v[68:69], -v[51:52]
	v_add_f64_e64 v[33:34], v[70:71], -v[78:79]
	v_add_f64_e32 v[55:56], v[21:22], v[10:11]
	v_add_f64_e64 v[124:125], v[21:22], -v[10:11]
	v_add_f64_e32 v[10:11], v[74:75], v[82:83]
	v_add_f64_e64 v[21:22], v[74:75], -v[82:83]
	v_fma_f64 v[29:30], v[29:30], -0.5, v[35:36]
	v_add_f64_e64 v[35:36], v[66:67], -v[76:77]
	v_fma_f64 v[70:71], v[33:34], s[26:27], v[12:13]
	v_fma_f64 v[12:13], v[33:34], s[28:29], v[12:13]
	v_fma_f64 v[10:11], v[10:11], -0.5, v[31:32]
	v_fma_f64 v[31:32], v[21:22], s[28:29], v[29:30]
	v_fma_f64 v[21:22], v[21:22], s[26:27], v[29:30]
	;; [unrolled: 1-line block ×3, first 2 shown]
	s_delay_alu instid0(VALU_DEP_4) | instskip(SKIP_2) | instid1(VALU_DEP_2)
	v_fma_f64 v[64:65], v[57:58], s[26:27], v[10:11]
	v_fma_f64 v[10:11], v[57:58], s[28:29], v[10:11]
	v_mul_f64_e32 v[66:67], s[26:27], v[31:32]
	v_mul_f64_e32 v[29:30], -0.5, v[10:11]
	s_delay_alu instid0(VALU_DEP_2) | instskip(SKIP_1) | instid1(VALU_DEP_3)
	v_fma_f64 v[68:69], v[64:65], 0.5, v[66:67]
	v_mul_f64_e32 v[64:65], s[28:29], v[64:65]
	v_fma_f64 v[29:30], v[21:22], s[26:27], v[29:30]
	v_mul_f64_e32 v[21:22], -0.5, v[21:22]
	s_delay_alu instid0(VALU_DEP_3)
	v_fma_f64 v[31:32], v[31:32], 0.5, v[64:65]
	v_add_f64_e32 v[64:65], v[70:71], v[68:69]
	v_add_f64_e64 v[68:69], v[70:71], -v[68:69]
	v_add_f64_e64 v[76:77], v[12:13], -v[29:30]
	v_fma_f64 v[10:11], v[10:11], s[28:29], v[21:22]
	v_add_f64_e32 v[66:67], v[72:73], v[31:32]
	v_add_f64_e64 v[70:71], v[72:73], -v[31:32]
	v_fma_f64 v[31:32], v[35:36], s[26:27], v[210:211]
	v_add_f64_e32 v[21:22], v[140:141], v[104:105]
	v_add_f64_e32 v[72:73], v[12:13], v[29:30]
	v_add_f64_e64 v[12:13], v[112:113], -v[108:109]
	v_add_f64_e64 v[29:30], v[138:139], -v[102:103]
	v_add_f64_e32 v[74:75], v[31:32], v[10:11]
	v_add_f64_e64 v[78:79], v[31:32], -v[10:11]
	v_add_f64_e32 v[10:11], v[112:113], v[108:109]
	v_fma_f64 v[21:22], v[21:22], -0.5, v[23:24]
	v_add_f64_e64 v[31:32], v[140:141], -v[104:105]
	v_add_f64_e64 v[23:24], v[114:115], -v[110:111]
	v_fma_f64 v[57:58], v[29:30], s[28:29], v[166:167]
	v_fma_f64 v[10:11], v[10:11], -0.5, v[14:15]
	v_fma_f64 v[14:15], v[12:13], s[28:29], v[21:22]
	v_fma_f64 v[12:13], v[12:13], s[26:27], v[21:22]
	s_delay_alu instid0(VALU_DEP_3) | instskip(NEXT) | instid1(VALU_DEP_3)
	v_fma_f64 v[33:34], v[31:32], s[26:27], v[10:11]
	v_mul_f64_e32 v[35:36], s[26:27], v[14:15]
	v_fma_f64 v[10:11], v[31:32], s[28:29], v[10:11]
	s_delay_alu instid0(VALU_DEP_2) | instskip(SKIP_1) | instid1(VALU_DEP_3)
	v_fma_f64 v[35:36], v[33:34], 0.5, v[35:36]
	v_mul_f64_e32 v[33:34], s[28:29], v[33:34]
	v_mul_f64_e32 v[21:22], -0.5, v[10:11]
	s_delay_alu instid0(VALU_DEP_2) | instskip(NEXT) | instid1(VALU_DEP_2)
	v_fma_f64 v[14:15], v[14:15], 0.5, v[33:34]
	v_fma_f64 v[21:22], v[12:13], s[26:27], v[21:22]
	v_mul_f64_e32 v[12:13], -0.5, v[12:13]
	v_fma_f64 v[33:34], v[23:24], s[26:27], v[4:5]
	v_fma_f64 v[4:5], v[23:24], s[28:29], v[4:5]
	v_add_f64_e32 v[82:83], v[57:58], v[14:15]
	v_add_f64_e64 v[104:105], v[57:58], -v[14:15]
	v_fma_f64 v[14:15], v[29:30], s[26:27], v[166:167]
	v_fma_f64 v[10:11], v[10:11], s[28:29], v[12:13]
	v_add_f64_e32 v[80:81], v[33:34], v[35:36]
	v_add_f64_e32 v[106:107], v[4:5], v[21:22]
	v_add_f64_e64 v[102:103], v[33:34], -v[35:36]
	v_add_f64_e64 v[110:111], v[4:5], -v[21:22]
	v_add_f64_e32 v[108:109], v[14:15], v[10:11]
	v_add_f64_e64 v[112:113], v[14:15], -v[10:11]
	ds_store_b128 v20, v[90:93]
	ds_store_b128 v20, v[142:145] offset:28800
	ds_store_b128 v20, v[130:133] offset:1920
	;; [unrolled: 1-line block ×29, first 2 shown]
	global_wb scope:SCOPE_SE
	s_wait_storecnt_dscnt 0x0
	s_barrier_signal -1
	s_barrier_wait -1
	global_inv scope:SCOPE_SE
	global_load_b128 v[4:7], v20, s[8:9] offset:57600
	ds_load_b128 v[0:3], v20
	ds_load_b128 v[49:52], v20 offset:1920
	s_add_nc_u64 s[8:9], s[8:9], 0xe100
	ds_load_b128 v[21:24], v20 offset:17280
	ds_load_b128 v[97:100], v20 offset:15360
	;; [unrolled: 1-line block ×26, first 2 shown]
	s_wait_loadcnt_dscnt 0x1b
	v_mul_f64_e32 v[8:9], v[2:3], v[6:7]
	v_mul_f64_e32 v[6:7], v[0:1], v[6:7]
	s_delay_alu instid0(VALU_DEP_2) | instskip(NEXT) | instid1(VALU_DEP_2)
	v_fma_f64 v[0:1], v[0:1], v[4:5], -v[8:9]
	v_fma_f64 v[2:3], v[2:3], v[4:5], v[6:7]
	global_load_b128 v[4:7], v20, s[8:9] offset:5760
	ds_load_b128 v[8:11], v20 offset:5760
	s_wait_loadcnt_dscnt 0x0
	v_mul_f64_e32 v[12:13], v[10:11], v[6:7]
	v_mul_f64_e32 v[14:15], v[8:9], v[6:7]
	s_delay_alu instid0(VALU_DEP_2) | instskip(NEXT) | instid1(VALU_DEP_2)
	v_fma_f64 v[6:7], v[8:9], v[4:5], -v[12:13]
	v_fma_f64 v[8:9], v[10:11], v[4:5], v[14:15]
	global_load_b128 v[10:13], v20, s[8:9] offset:11520
	ds_load_b128 v[14:17], v20 offset:11520
	s_wait_loadcnt_dscnt 0x0
	v_mul_f64_e32 v[4:5], v[16:17], v[12:13]
	v_mul_f64_e32 v[18:19], v[14:15], v[12:13]
	s_delay_alu instid0(VALU_DEP_2) | instskip(NEXT) | instid1(VALU_DEP_2)
	v_fma_f64 v[12:13], v[14:15], v[10:11], -v[4:5]
	v_fma_f64 v[14:15], v[16:17], v[10:11], v[18:19]
	global_load_b128 v[16:19], v20, s[8:9] offset:17280
	s_wait_loadcnt 0x0
	v_mul_f64_e32 v[4:5], v[23:24], v[18:19]
	v_mul_f64_e32 v[10:11], v[21:22], v[18:19]
	s_delay_alu instid0(VALU_DEP_2) | instskip(NEXT) | instid1(VALU_DEP_2)
	v_fma_f64 v[21:22], v[21:22], v[16:17], -v[4:5]
	v_fma_f64 v[23:24], v[23:24], v[16:17], v[10:11]
	global_load_b128 v[16:19], v20, s[8:9] offset:23040
	s_wait_loadcnt 0x0
	;; [unrolled: 7-line block ×27, first 2 shown]
	v_mul_f64_e32 v[4:5], v[127:128], v[18:19]
	v_mul_f64_e32 v[10:11], v[125:126], v[18:19]
	s_delay_alu instid0(VALU_DEP_2) | instskip(NEXT) | instid1(VALU_DEP_2)
	v_fma_f64 v[125:126], v[125:126], v[16:17], -v[4:5]
	v_fma_f64 v[127:128], v[127:128], v[16:17], v[10:11]
	ds_store_b128 v20, v[0:3]
	ds_store_b128 v20, v[6:9] offset:5760
	ds_store_b128 v20, v[12:15] offset:11520
	;; [unrolled: 1-line block ×29, first 2 shown]
	global_wb scope:SCOPE_SE
	s_wait_dscnt 0x0
	s_barrier_signal -1
	s_barrier_wait -1
	global_inv scope:SCOPE_SE
	ds_load_b128 v[0:3], v20 offset:11520
	ds_load_b128 v[4:7], v20
	ds_load_b128 v[8:11], v20 offset:23040
	s_wait_dscnt 0x1
	v_add_f64_e32 v[12:13], v[4:5], v[0:1]
	s_wait_dscnt 0x0
	v_add_f64_e64 v[25:26], v[0:1], -v[8:9]
	v_add_f64_e64 v[27:28], v[8:9], -v[0:1]
	;; [unrolled: 1-line block ×4, first 2 shown]
	v_add_f64_e32 v[16:17], v[12:13], v[8:9]
	v_add_f64_e32 v[12:13], v[6:7], v[2:3]
	s_delay_alu instid0(VALU_DEP_1)
	v_add_f64_e32 v[18:19], v[12:13], v[10:11]
	ds_load_b128 v[12:15], v20 offset:34560
	s_wait_dscnt 0x0
	v_add_f64_e32 v[21:22], v[8:9], v[12:13]
	v_add_f64_e64 v[23:24], v[10:11], -v[14:15]
	v_add_f64_e32 v[29:30], v[10:11], v[14:15]
	v_add_f64_e64 v[31:32], v[8:9], -v[12:13]
	ds_load_b128 v[8:11], v20 offset:46080
	s_wait_dscnt 0x0
	v_add_f64_e64 v[37:38], v[2:3], -v[10:11]
	v_add_f64_e32 v[39:40], v[0:1], v[8:9]
	v_add_f64_e64 v[41:42], v[0:1], -v[8:9]
	v_add_f64_e32 v[43:44], v[2:3], v[10:11]
	v_add_f64_e32 v[0:1], v[16:17], v[12:13]
	;; [unrolled: 1-line block ×3, first 2 shown]
	v_add_f64_e64 v[45:46], v[8:9], -v[12:13]
	v_add_f64_e64 v[60:61], v[12:13], -v[8:9]
	;; [unrolled: 1-line block ×4, first 2 shown]
	v_fma_f64 v[21:22], v[21:22], -0.5, v[4:5]
	v_fma_f64 v[29:30], v[29:30], -0.5, v[6:7]
	;; [unrolled: 1-line block ×4, first 2 shown]
	v_add_f64_e32 v[49:50], v[0:1], v[8:9]
	v_add_f64_e32 v[54:55], v[2:3], v[10:11]
	ds_load_b128 v[0:3], v20 offset:17280
	ds_load_b128 v[8:11], v20 offset:5760
	;; [unrolled: 1-line block ×3, first 2 shown]
	v_add_f64_e32 v[27:28], v[27:28], v[60:61]
	s_wait_dscnt 0x1
	v_add_f64_e32 v[16:17], v[8:9], v[0:1]
	s_wait_dscnt 0x0
	v_add_f64_e64 v[64:65], v[0:1], -v[12:13]
	v_add_f64_e64 v[66:67], v[12:13], -v[0:1]
	;; [unrolled: 1-line block ×4, first 2 shown]
	v_add_f64_e32 v[51:52], v[16:17], v[12:13]
	v_add_f64_e32 v[16:17], v[10:11], v[2:3]
	s_delay_alu instid0(VALU_DEP_1)
	v_add_f64_e32 v[56:57], v[16:17], v[14:15]
	ds_load_b128 v[16:19], v20 offset:40320
	s_wait_dscnt 0x0
	v_add_f64_e32 v[68:69], v[14:15], v[18:19]
	v_add_f64_e32 v[51:52], v[51:52], v[16:17]
	;; [unrolled: 1-line block ×3, first 2 shown]
	v_add_f64_e64 v[80:81], v[14:15], -v[18:19]
	v_add_f64_e64 v[82:83], v[12:13], -v[16:17]
	ds_load_b128 v[12:15], v20 offset:51840
	v_add_f64_e32 v[56:57], v[56:57], v[18:19]
	s_wait_dscnt 0x0
	v_add_f64_e32 v[74:75], v[0:1], v[12:13]
	v_add_f64_e64 v[0:1], v[0:1], -v[12:13]
	v_add_f64_e64 v[76:77], v[12:13], -v[16:17]
	;; [unrolled: 1-line block ×4, first 2 shown]
	v_add_f64_e32 v[2:3], v[2:3], v[14:15]
	v_add_f64_e64 v[78:79], v[14:15], -v[18:19]
	v_add_f64_e64 v[18:19], v[18:19], -v[14:15]
	v_fma_f64 v[39:40], v[68:69], -0.5, v[10:11]
	v_add_f64_e32 v[12:13], v[51:52], v[12:13]
	v_fma_f64 v[86:87], v[58:59], -0.5, v[8:9]
	v_add_f64_e32 v[14:15], v[56:57], v[14:15]
	;; [unrolled: 2-line block ×4, first 2 shown]
	v_add_f64_e32 v[25:26], v[70:71], v[78:79]
	v_add_f64_e32 v[18:19], v[72:73], v[18:19]
	;; [unrolled: 1-line block ×3, first 2 shown]
	v_add_f64_e64 v[52:53], v[49:50], -v[12:13]
	v_add_f64_e32 v[12:13], v[33:34], v[47:48]
	v_fma_f64 v[33:34], v[0:1], s[16:17], v[39:40]
	v_fma_f64 v[43:44], v[84:85], s[18:19], v[86:87]
	v_add_f64_e32 v[58:59], v[54:55], v[14:15]
	v_add_f64_e64 v[54:55], v[54:55], -v[14:15]
	v_add_f64_e32 v[14:15], v[64:65], v[76:77]
	v_fma_f64 v[60:61], v[80:81], s[16:17], v[8:9]
	v_fma_f64 v[8:9], v[80:81], s[18:19], v[8:9]
	;; [unrolled: 1-line block ×4, first 2 shown]
	s_delay_alu instid0(VALU_DEP_4) | instskip(NEXT) | instid1(VALU_DEP_4)
	v_fma_f64 v[60:61], v[84:85], s[12:13], v[60:61]
	v_fma_f64 v[8:9], v[84:85], s[2:3], v[8:9]
	s_delay_alu instid0(VALU_DEP_4) | instskip(NEXT) | instid1(VALU_DEP_4)
	v_fma_f64 v[33:34], v[25:26], s[14:15], v[33:34]
	v_fma_f64 v[43:44], v[14:15], s[14:15], v[43:44]
	;; [unrolled: 3-line block ×3, first 2 shown]
	s_delay_alu instid0(VALU_DEP_4) | instskip(NEXT) | instid1(VALU_DEP_1)
	v_mul_f64_e32 v[45:46], s[12:13], v[33:34]
	v_fma_f64 v[48:49], v[43:44], s[24:25], v[45:46]
	v_mul_f64_e32 v[43:44], s[2:3], v[43:44]
	v_fma_f64 v[45:46], v[41:42], s[16:17], v[29:30]
	s_delay_alu instid0(VALU_DEP_2) | instskip(SKIP_1) | instid1(VALU_DEP_3)
	v_fma_f64 v[33:34], v[33:34], s[24:25], v[43:44]
	v_fma_f64 v[43:44], v[37:38], s[18:19], v[21:22]
	;; [unrolled: 1-line block ×3, first 2 shown]
	s_delay_alu instid0(VALU_DEP_2) | instskip(NEXT) | instid1(VALU_DEP_2)
	v_fma_f64 v[43:44], v[23:24], s[12:13], v[43:44]
	v_fma_f64 v[64:65], v[12:13], s[14:15], v[45:46]
	s_delay_alu instid0(VALU_DEP_2) | instskip(NEXT) | instid1(VALU_DEP_2)
	v_fma_f64 v[50:51], v[10:11], s[14:15], v[43:44]
	v_add_f64_e32 v[46:47], v[64:65], v[33:34]
	s_delay_alu instid0(VALU_DEP_2)
	v_add_f64_e32 v[44:45], v[50:51], v[48:49]
	v_add_f64_e64 v[48:49], v[50:51], -v[48:49]
	v_add_f64_e64 v[50:51], v[64:65], -v[33:34]
	v_add_f64_e32 v[33:34], v[35:36], v[62:63]
	v_fma_f64 v[35:36], v[82:83], s[18:19], v[2:3]
	v_fma_f64 v[2:3], v[82:83], s[16:17], v[2:3]
	;; [unrolled: 1-line block ×4, first 2 shown]
	s_delay_alu instid0(VALU_DEP_4) | instskip(NEXT) | instid1(VALU_DEP_4)
	v_fma_f64 v[35:36], v[0:1], s[2:3], v[35:36]
	v_fma_f64 v[2:3], v[0:1], s[12:13], v[2:3]
	;; [unrolled: 1-line block ×3, first 2 shown]
	s_delay_alu instid0(VALU_DEP_4)
	v_fma_f64 v[6:7], v[41:42], s[12:13], v[6:7]
	v_fma_f64 v[64:65], v[41:42], s[2:3], v[64:65]
	;; [unrolled: 1-line block ×7, first 2 shown]
	v_mul_f64_e32 v[62:63], s[18:19], v[35:36]
	v_mul_f64_e32 v[35:36], s[14:15], v[35:36]
	;; [unrolled: 1-line block ×4, first 2 shown]
	v_fma_f64 v[0:1], v[25:26], s[14:15], v[0:1]
	v_fma_f64 v[62:63], v[60:61], s[14:15], v[62:63]
	;; [unrolled: 1-line block ×7, first 2 shown]
	v_mul_f64_e32 v[8:9], s[12:13], v[0:1]
	v_mul_f64_e32 v[0:1], s[22:23], v[0:1]
	v_add_f64_e32 v[66:67], v[70:71], v[35:36]
	v_fma_f64 v[60:61], v[37:38], s[12:13], v[60:61]
	v_fma_f64 v[4:5], v[37:38], s[2:3], v[4:5]
	v_add_f64_e32 v[74:75], v[6:7], v[2:3]
	v_add_f64_e64 v[78:79], v[6:7], -v[2:3]
	v_fma_f64 v[6:7], v[84:85], s[16:17], v[86:87]
	v_fma_f64 v[2:3], v[37:38], s[16:17], v[21:22]
	v_add_f64_e64 v[70:71], v[70:71], -v[35:36]
	v_fma_f64 v[60:61], v[27:28], s[14:15], v[60:61]
	v_fma_f64 v[4:5], v[27:28], s[14:15], v[4:5]
	;; [unrolled: 1-line block ×4, first 2 shown]
	s_delay_alu instid0(VALU_DEP_4) | instskip(NEXT) | instid1(VALU_DEP_4)
	v_add_f64_e32 v[64:65], v[60:61], v[62:63]
	v_add_f64_e32 v[72:73], v[4:5], v[16:17]
	v_add_f64_e64 v[76:77], v[4:5], -v[16:17]
	v_fma_f64 v[4:5], v[41:42], s[18:19], v[29:30]
	v_fma_f64 v[6:7], v[14:15], s[14:15], v[6:7]
	;; [unrolled: 1-line block ×3, first 2 shown]
	v_add_f64_e64 v[68:69], v[60:61], -v[62:63]
	s_delay_alu instid0(VALU_DEP_4) | instskip(NEXT) | instid1(VALU_DEP_4)
	v_fma_f64 v[4:5], v[31:32], s[12:13], v[4:5]
	v_fma_f64 v[8:9], v[6:7], s[22:23], v[8:9]
	;; [unrolled: 1-line block ×3, first 2 shown]
	s_delay_alu instid0(VALU_DEP_3) | instskip(NEXT) | instid1(VALU_DEP_3)
	v_fma_f64 v[4:5], v[12:13], s[14:15], v[4:5]
	v_add_f64_e32 v[80:81], v[2:3], v[8:9]
	v_add_f64_e64 v[84:85], v[2:3], -v[8:9]
	s_delay_alu instid0(VALU_DEP_3)
	v_add_f64_e32 v[82:83], v[4:5], v[0:1]
	v_add_f64_e64 v[86:87], v[4:5], -v[0:1]
	ds_load_b128 v[32:35], v20 offset:1920
	ds_load_b128 v[88:91], v20 offset:13440
	;; [unrolled: 1-line block ×20, first 2 shown]
	global_wb scope:SCOPE_SE
	s_wait_dscnt 0x0
	s_barrier_signal -1
	s_barrier_wait -1
	global_inv scope:SCOPE_SE
	ds_store_b128 v170, v[56:59]
	ds_store_b128 v170, v[52:55] offset:80
	ds_store_b128 v170, v[44:47] offset:16
	;; [unrolled: 1-line block ×9, first 2 shown]
	v_add_f64_e32 v[44:45], v[34:35], v[90:91]
	v_add_f64_e32 v[21:22], v[32:33], v[88:89]
	;; [unrolled: 1-line block ×3, first 2 shown]
	v_add_f64_e64 v[76:77], v[94:95], -v[98:99]
	v_add_f64_e32 v[50:51], v[94:95], v[98:99]
	v_add_f64_e64 v[52:53], v[90:91], -v[94:95]
	v_add_f64_e64 v[58:59], v[94:95], -v[90:91]
	v_add_f64_e32 v[46:47], v[92:93], v[96:97]
	v_add_f64_e64 v[48:49], v[88:89], -v[92:93]
	v_add_f64_e64 v[56:57], v[92:93], -v[88:89]
	;; [unrolled: 1-line block ×4, first 2 shown]
	v_add_f64_e32 v[54:55], v[88:89], v[100:101]
	v_add_f64_e32 v[64:65], v[90:91], v[102:103]
	v_add_f64_e64 v[66:67], v[100:101], -v[96:97]
	v_add_f64_e64 v[68:69], v[96:97], -v[100:101]
	v_add_f64_e32 v[86:87], v[112:113], v[116:117]
	v_add_f64_e64 v[90:91], v[108:109], -v[112:113]
	v_add_f64_e64 v[82:83], v[88:89], -v[100:101]
	v_add_f64_e64 v[70:71], v[102:103], -v[98:99]
	v_add_f64_e64 v[72:73], v[98:99], -v[102:103]
	v_add_f64_e64 v[88:89], v[114:115], -v[118:119]
	v_add_f64_e64 v[124:125], v[122:123], -v[118:119]
	v_add_f64_e32 v[44:45], v[44:45], v[94:95]
	v_add_f64_e32 v[21:22], v[21:22], v[92:93]
	;; [unrolled: 1-line block ×4, first 2 shown]
	v_add_f64_e64 v[92:93], v[112:113], -v[108:109]
	v_fma_f64 v[126:127], v[50:51], -0.5, v[34:35]
	v_fma_f64 v[128:129], v[64:65], -0.5, v[34:35]
	v_add_f64_e32 v[68:69], v[56:57], v[68:69]
	v_fma_f64 v[86:87], v[86:87], -0.5, v[104:105]
	v_add_f64_e32 v[44:45], v[44:45], v[98:99]
	v_add_f64_e32 v[21:22], v[21:22], v[96:97]
	v_add_f64_e64 v[96:97], v[112:113], -v[116:117]
	v_add_f64_e32 v[84:85], v[84:85], v[118:119]
	v_fma_f64 v[94:95], v[94:95], -0.5, v[106:107]
	v_add_f64_e64 v[98:99], v[110:111], -v[114:115]
	v_add_f64_e64 v[118:119], v[118:119], -v[122:123]
	v_add_f64_e32 v[74:75], v[44:45], v[102:103]
	v_add_f64_e32 v[44:45], v[104:105], v[108:109]
	;; [unrolled: 1-line block ×3, first 2 shown]
	v_add_f64_e64 v[100:101], v[114:115], -v[110:111]
	v_add_f64_e64 v[102:103], v[110:111], -v[122:123]
	v_add_f64_e32 v[110:111], v[110:111], v[122:123]
	v_add_f64_e64 v[114:115], v[120:121], -v[116:117]
	v_add_f64_e32 v[84:85], v[84:85], v[122:123]
	v_fma_f64 v[122:123], v[54:55], -0.5, v[32:33]
	v_add_f64_e32 v[98:99], v[98:99], v[124:125]
	v_add_f64_e32 v[44:45], v[44:45], v[112:113]
	v_add_f64_e32 v[112:113], v[108:109], v[120:121]
	v_add_f64_e64 v[108:109], v[108:109], -v[120:121]
	v_fma_f64 v[50:51], v[102:103], s[18:19], v[86:87]
	v_fma_f64 v[106:107], v[110:111], -0.5, v[106:107]
	v_add_f64_e32 v[90:91], v[90:91], v[114:115]
	v_add_f64_e32 v[34:35], v[74:75], v[84:85]
	v_fma_f64 v[86:87], v[102:103], s[16:17], v[86:87]
	v_add_f64_e32 v[44:45], v[44:45], v[116:117]
	v_add_f64_e64 v[116:117], v[116:117], -v[120:121]
	v_fma_f64 v[104:105], v[112:113], -0.5, v[104:105]
	v_fma_f64 v[50:51], v[88:89], s[12:13], v[50:51]
	v_fma_f64 v[56:57], v[96:97], s[18:19], v[106:107]
	v_add_f64_e32 v[44:45], v[44:45], v[120:121]
	v_fma_f64 v[120:121], v[46:47], -0.5, v[32:33]
	v_add_f64_e64 v[46:47], v[74:75], -v[84:85]
	v_add_f64_e32 v[84:85], v[52:53], v[70:71]
	v_fma_f64 v[50:51], v[90:91], s[14:15], v[50:51]
	v_add_f64_e32 v[70:71], v[58:59], v[72:73]
	v_add_f64_e32 v[74:75], v[100:101], v[118:119]
	v_fma_f64 v[56:57], v[108:109], s[2:3], v[56:57]
	v_fma_f64 v[58:59], v[88:89], s[16:17], v[104:105]
	v_add_f64_e32 v[72:73], v[92:93], v[116:117]
	v_add_f64_e32 v[32:33], v[21:22], v[44:45]
	v_add_f64_e64 v[44:45], v[21:22], -v[44:45]
	v_add_f64_e32 v[21:22], v[48:49], v[66:67]
	v_fma_f64 v[48:49], v[108:109], s[16:17], v[94:95]
	v_fma_f64 v[56:57], v[74:75], s[14:15], v[56:57]
	;; [unrolled: 1-line block ×3, first 2 shown]
	s_delay_alu instid0(VALU_DEP_3) | instskip(NEXT) | instid1(VALU_DEP_2)
	v_fma_f64 v[48:49], v[96:97], s[2:3], v[48:49]
	v_fma_f64 v[58:59], v[72:73], s[14:15], v[58:59]
	s_delay_alu instid0(VALU_DEP_2) | instskip(NEXT) | instid1(VALU_DEP_1)
	v_fma_f64 v[48:49], v[98:99], s[14:15], v[48:49]
	v_mul_f64_e32 v[52:53], s[12:13], v[48:49]
	s_delay_alu instid0(VALU_DEP_1) | instskip(SKIP_1) | instid1(VALU_DEP_1)
	v_fma_f64 v[52:53], v[50:51], s[24:25], v[52:53]
	v_mul_f64_e32 v[50:51], s[2:3], v[50:51]
	v_fma_f64 v[54:55], v[48:49], s[24:25], v[50:51]
	v_fma_f64 v[48:49], v[80:81], s[18:19], v[120:121]
	;; [unrolled: 1-line block ×3, first 2 shown]
	s_delay_alu instid0(VALU_DEP_2) | instskip(NEXT) | instid1(VALU_DEP_2)
	v_fma_f64 v[48:49], v[76:77], s[12:13], v[48:49]
	v_fma_f64 v[50:51], v[78:79], s[2:3], v[50:51]
	s_delay_alu instid0(VALU_DEP_2) | instskip(NEXT) | instid1(VALU_DEP_2)
	v_fma_f64 v[64:65], v[21:22], s[14:15], v[48:49]
	v_fma_f64 v[66:67], v[84:85], s[14:15], v[50:51]
	s_delay_alu instid0(VALU_DEP_2)
	v_add_f64_e32 v[48:49], v[64:65], v[52:53]
	v_add_f64_e64 v[52:53], v[64:65], -v[52:53]
	v_mul_f64_e32 v[64:65], s[18:19], v[56:57]
	v_mul_f64_e32 v[56:57], s[14:15], v[56:57]
	v_add_f64_e32 v[50:51], v[66:67], v[54:55]
	v_add_f64_e64 v[54:55], v[66:67], -v[54:55]
	s_delay_alu instid0(VALU_DEP_4) | instskip(NEXT) | instid1(VALU_DEP_4)
	v_fma_f64 v[64:65], v[58:59], s[14:15], v[64:65]
	v_fma_f64 v[66:67], v[58:59], s[16:17], v[56:57]
	;; [unrolled: 1-line block ×4, first 2 shown]
	s_delay_alu instid0(VALU_DEP_2) | instskip(NEXT) | instid1(VALU_DEP_2)
	v_fma_f64 v[56:57], v[80:81], s[12:13], v[56:57]
	v_fma_f64 v[58:59], v[82:83], s[2:3], v[58:59]
	s_delay_alu instid0(VALU_DEP_2) | instskip(NEXT) | instid1(VALU_DEP_2)
	v_fma_f64 v[92:93], v[68:69], s[14:15], v[56:57]
	v_fma_f64 v[100:101], v[70:71], s[14:15], v[58:59]
	s_delay_alu instid0(VALU_DEP_2) | instskip(SKIP_2) | instid1(VALU_DEP_4)
	v_add_f64_e32 v[56:57], v[92:93], v[64:65]
	v_add_f64_e64 v[64:65], v[92:93], -v[64:65]
	v_fma_f64 v[92:93], v[76:77], s[18:19], v[122:123]
	v_add_f64_e32 v[58:59], v[100:101], v[66:67]
	v_add_f64_e64 v[66:67], v[100:101], -v[66:67]
	s_delay_alu instid0(VALU_DEP_3) | instskip(SKIP_1) | instid1(VALU_DEP_2)
	v_fma_f64 v[92:93], v[80:81], s[2:3], v[92:93]
	v_fma_f64 v[80:81], v[80:81], s[16:17], v[120:121]
	;; [unrolled: 1-line block ×4, first 2 shown]
	s_delay_alu instid0(VALU_DEP_3) | instskip(SKIP_1) | instid1(VALU_DEP_3)
	v_fma_f64 v[76:77], v[76:77], s[2:3], v[80:81]
	v_fma_f64 v[80:81], v[88:89], s[2:3], v[86:87]
	;; [unrolled: 1-line block ×4, first 2 shown]
	s_delay_alu instid0(VALU_DEP_4) | instskip(NEXT) | instid1(VALU_DEP_4)
	v_fma_f64 v[21:22], v[21:22], s[14:15], v[76:77]
	v_fma_f64 v[76:77], v[90:91], s[14:15], v[80:81]
	s_delay_alu instid0(VALU_DEP_4) | instskip(SKIP_3) | instid1(VALU_DEP_3)
	v_fma_f64 v[100:101], v[70:71], s[14:15], v[68:69]
	v_fma_f64 v[68:69], v[96:97], s[16:17], v[106:107]
	v_fma_f64 v[70:71], v[88:89], s[18:19], v[104:105]
	v_fma_f64 v[78:79], v[78:79], s[12:13], v[82:83]
	v_fma_f64 v[68:69], v[108:109], s[12:13], v[68:69]
	s_delay_alu instid0(VALU_DEP_3) | instskip(NEXT) | instid1(VALU_DEP_3)
	v_fma_f64 v[70:71], v[102:103], s[2:3], v[70:71]
	v_fma_f64 v[84:85], v[84:85], s[14:15], v[78:79]
	s_delay_alu instid0(VALU_DEP_3) | instskip(NEXT) | instid1(VALU_DEP_3)
	v_fma_f64 v[68:69], v[74:75], s[14:15], v[68:69]
	v_fma_f64 v[70:71], v[72:73], s[14:15], v[70:71]
	s_delay_alu instid0(VALU_DEP_2) | instskip(SKIP_1) | instid1(VALU_DEP_2)
	v_mul_f64_e32 v[72:73], s[18:19], v[68:69]
	v_mul_f64_e32 v[68:69], s[20:21], v[68:69]
	v_fma_f64 v[72:73], v[70:71], s[20:21], v[72:73]
	s_delay_alu instid0(VALU_DEP_2) | instskip(NEXT) | instid1(VALU_DEP_2)
	v_fma_f64 v[74:75], v[70:71], s[16:17], v[68:69]
	v_add_f64_e32 v[68:69], v[92:93], v[72:73]
	v_add_f64_e64 v[72:73], v[92:93], -v[72:73]
	v_fma_f64 v[92:93], v[108:109], s[18:19], v[94:95]
	s_delay_alu instid0(VALU_DEP_4) | instskip(SKIP_1) | instid1(VALU_DEP_3)
	v_add_f64_e32 v[70:71], v[100:101], v[74:75]
	v_add_f64_e64 v[74:75], v[100:101], -v[74:75]
	v_fma_f64 v[92:93], v[96:97], s[12:13], v[92:93]
	s_delay_alu instid0(VALU_DEP_1) | instskip(NEXT) | instid1(VALU_DEP_1)
	v_fma_f64 v[82:83], v[98:99], s[14:15], v[92:93]
	v_mul_f64_e32 v[78:79], s[12:13], v[82:83]
	v_mul_f64_e32 v[80:81], s[22:23], v[82:83]
	s_delay_alu instid0(VALU_DEP_2) | instskip(NEXT) | instid1(VALU_DEP_2)
	v_fma_f64 v[82:83], v[76:77], s[22:23], v[78:79]
	v_fma_f64 v[86:87], v[76:77], s[2:3], v[80:81]
	s_delay_alu instid0(VALU_DEP_2) | instskip(SKIP_2) | instid1(VALU_DEP_4)
	v_add_f64_e32 v[76:77], v[21:22], v[82:83]
	v_add_f64_e64 v[80:81], v[21:22], -v[82:83]
	v_add_f64_e32 v[21:22], v[40:41], v[4:5]
	v_add_f64_e32 v[78:79], v[84:85], v[86:87]
	v_add_f64_e64 v[82:83], v[84:85], -v[86:87]
	ds_store_b128 v209, v[32:35]
	ds_store_b128 v209, v[48:51] offset:16
	ds_store_b128 v209, v[56:59] offset:32
	;; [unrolled: 1-line block ×9, first 2 shown]
	v_add_f64_e32 v[32:33], v[42:43], v[6:7]
	v_add_f64_e32 v[34:35], v[0:1], v[8:9]
	;; [unrolled: 1-line block ×3, first 2 shown]
	v_add_f64_e64 v[46:47], v[4:5], -v[0:1]
	v_add_f64_e64 v[48:49], v[0:1], -v[4:5]
	;; [unrolled: 1-line block ×3, first 2 shown]
	v_add_f64_e32 v[0:1], v[4:5], v[12:13]
	v_add_f64_e64 v[64:65], v[4:5], -v[12:13]
	v_add_f64_e64 v[44:45], v[2:3], -v[10:11]
	v_add_f64_e32 v[50:51], v[2:3], v[10:11]
	v_add_f64_e64 v[54:55], v[6:7], -v[2:3]
	v_add_f64_e64 v[56:57], v[2:3], -v[6:7]
	;; [unrolled: 1-line block ×4, first 2 shown]
	v_add_f64_e32 v[74:75], v[18:19], v[26:27]
	v_add_f64_e64 v[68:69], v[18:19], -v[26:27]
	v_add_f64_e64 v[70:71], v[60:61], -v[16:17]
	;; [unrolled: 1-line block ×5, first 2 shown]
	v_add_f64_e32 v[80:81], v[60:61], v[28:29]
	v_add_f64_e64 v[82:83], v[28:29], -v[24:25]
	v_add_f64_e64 v[84:85], v[30:31], -v[26:27]
	v_add_f64_e32 v[32:33], v[32:33], v[2:3]
	v_add_f64_e32 v[2:3], v[6:7], v[14:15]
	;; [unrolled: 1-line block ×3, first 2 shown]
	v_add_f64_e64 v[21:22], v[12:13], -v[8:9]
	v_fma_f64 v[34:35], v[34:35], -0.5, v[40:41]
	v_add_f64_e32 v[6:7], v[32:33], v[10:11]
	v_add_f64_e64 v[32:33], v[8:9], -v[12:13]
	v_add_f64_e64 v[8:9], v[14:15], -v[10:11]
	v_add_f64_e32 v[4:5], v[4:5], v[12:13]
	v_add_f64_e32 v[10:11], v[36:37], v[60:61]
	;; [unrolled: 1-line block ×3, first 2 shown]
	v_add_f64_e64 v[60:61], v[60:61], -v[28:29]
	v_add_f64_e32 v[46:47], v[46:47], v[21:22]
	v_add_f64_e32 v[6:7], v[6:7], v[14:15]
	;; [unrolled: 1-line block ×6, first 2 shown]
	v_add_f64_e64 v[16:17], v[62:63], -v[18:19]
	v_add_f64_e64 v[18:19], v[18:19], -v[62:63]
	v_add_f64_e32 v[62:63], v[62:63], v[30:31]
	v_add_f64_e32 v[10:11], v[10:11], v[24:25]
	;; [unrolled: 1-line block ×3, first 2 shown]
	v_add_f64_e64 v[23:24], v[24:25], -v[28:29]
	v_add_f64_e64 v[25:26], v[26:27], -v[30:31]
	s_delay_alu instid0(VALU_DEP_4) | instskip(NEXT) | instid1(VALU_DEP_4)
	v_add_f64_e32 v[10:11], v[10:11], v[28:29]
	v_add_f64_e32 v[12:13], v[12:13], v[30:31]
	v_fma_f64 v[27:28], v[0:1], -0.5, v[40:41]
	v_fma_f64 v[40:41], v[50:51], -0.5, v[42:43]
	;; [unrolled: 1-line block ×6, first 2 shown]
	v_add_f64_e32 v[62:63], v[70:71], v[82:83]
	v_add_f64_e32 v[70:71], v[16:17], v[84:85]
	v_fma_f64 v[36:37], v[80:81], -0.5, v[36:37]
	v_add_f64_e32 v[25:26], v[18:19], v[25:26]
	v_add_f64_e32 v[31:32], v[48:49], v[32:33]
	;; [unrolled: 1-line block ×5, first 2 shown]
	v_add_f64_e64 v[4:5], v[4:5], -v[10:11]
	v_add_f64_e32 v[2:3], v[6:7], v[12:13]
	v_add_f64_e64 v[6:7], v[6:7], -v[12:13]
	v_fma_f64 v[8:9], v[60:61], s[16:17], v[42:43]
	v_fma_f64 v[10:11], v[78:79], s[18:19], v[50:51]
	;; [unrolled: 1-line block ×3, first 2 shown]
	s_delay_alu instid0(VALU_DEP_3) | instskip(NEXT) | instid1(VALU_DEP_3)
	v_fma_f64 v[8:9], v[76:77], s[2:3], v[8:9]
	v_fma_f64 v[10:11], v[68:69], s[12:13], v[10:11]
	s_delay_alu instid0(VALU_DEP_3) | instskip(NEXT) | instid1(VALU_DEP_3)
	v_fma_f64 v[18:19], v[78:79], s[12:13], v[18:19]
	v_fma_f64 v[8:9], v[70:71], s[14:15], v[8:9]
	;; [unrolled: 3-line block ×3, first 2 shown]
	s_delay_alu instid0(VALU_DEP_3) | instskip(NEXT) | instid1(VALU_DEP_1)
	v_mul_f64_e32 v[12:13], s[12:13], v[8:9]
	v_fma_f64 v[12:13], v[10:11], s[24:25], v[12:13]
	v_mul_f64_e32 v[10:11], s[2:3], v[10:11]
	s_delay_alu instid0(VALU_DEP_1) | instskip(SKIP_3) | instid1(VALU_DEP_3)
	v_fma_f64 v[14:15], v[8:9], s[24:25], v[10:11]
	v_fma_f64 v[8:9], v[58:59], s[18:19], v[34:35]
	;; [unrolled: 1-line block ×5, first 2 shown]
	s_delay_alu instid0(VALU_DEP_3) | instskip(NEXT) | instid1(VALU_DEP_3)
	v_fma_f64 v[10:11], v[52:53], s[2:3], v[10:11]
	v_fma_f64 v[33:34], v[44:45], s[2:3], v[33:34]
	s_delay_alu instid0(VALU_DEP_3) | instskip(NEXT) | instid1(VALU_DEP_3)
	v_fma_f64 v[16:17], v[46:47], s[14:15], v[8:9]
	v_fma_f64 v[21:22], v[54:55], s[14:15], v[10:11]
	s_delay_alu instid0(VALU_DEP_2) | instskip(SKIP_2) | instid1(VALU_DEP_4)
	v_add_f64_e32 v[8:9], v[16:17], v[12:13]
	v_add_f64_e64 v[12:13], v[16:17], -v[12:13]
	v_fma_f64 v[16:17], v[76:77], s[18:19], v[38:39]
	v_add_f64_e32 v[10:11], v[21:22], v[14:15]
	v_add_f64_e64 v[14:15], v[21:22], -v[14:15]
	s_delay_alu instid0(VALU_DEP_3) | instskip(NEXT) | instid1(VALU_DEP_1)
	v_fma_f64 v[16:17], v[60:61], s[2:3], v[16:17]
	v_fma_f64 v[16:17], v[25:26], s[14:15], v[16:17]
	s_delay_alu instid0(VALU_DEP_1) | instskip(SKIP_1) | instid1(VALU_DEP_2)
	v_mul_f64_e32 v[21:22], s[18:19], v[16:17]
	v_mul_f64_e32 v[16:17], s[14:15], v[16:17]
	v_fma_f64 v[21:22], v[18:19], s[14:15], v[21:22]
	s_delay_alu instid0(VALU_DEP_2) | instskip(SKIP_3) | instid1(VALU_DEP_3)
	v_fma_f64 v[23:24], v[18:19], s[16:17], v[16:17]
	v_fma_f64 v[16:17], v[44:45], s[16:17], v[27:28]
	;; [unrolled: 1-line block ×5, first 2 shown]
	s_delay_alu instid0(VALU_DEP_3) | instskip(NEXT) | instid1(VALU_DEP_3)
	v_fma_f64 v[27:28], v[58:59], s[2:3], v[27:28]
	v_fma_f64 v[18:19], v[64:65], s[2:3], v[18:19]
	s_delay_alu instid0(VALU_DEP_3) | instskip(NEXT) | instid1(VALU_DEP_3)
	v_fma_f64 v[66:67], v[31:32], s[14:15], v[16:17]
	v_fma_f64 v[31:32], v[31:32], s[14:15], v[27:28]
	;; [unrolled: 1-line block ×3, first 2 shown]
	s_delay_alu instid0(VALU_DEP_4) | instskip(NEXT) | instid1(VALU_DEP_4)
	v_fma_f64 v[72:73], v[48:49], s[14:15], v[18:19]
	v_add_f64_e32 v[16:17], v[66:67], v[21:22]
	v_add_f64_e64 v[21:22], v[66:67], -v[21:22]
	s_delay_alu instid0(VALU_DEP_4) | instskip(NEXT) | instid1(VALU_DEP_4)
	v_fma_f64 v[27:28], v[64:65], s[12:13], v[27:28]
	v_add_f64_e32 v[18:19], v[72:73], v[23:24]
	v_add_f64_e64 v[23:24], v[72:73], -v[23:24]
	s_delay_alu instid0(VALU_DEP_3) | instskip(SKIP_3) | instid1(VALU_DEP_3)
	v_fma_f64 v[48:49], v[48:49], s[14:15], v[27:28]
	v_fma_f64 v[27:28], v[76:77], s[16:17], v[38:39]
	;; [unrolled: 1-line block ×5, first 2 shown]
	s_delay_alu instid0(VALU_DEP_1) | instskip(SKIP_1) | instid1(VALU_DEP_2)
	v_fma_f64 v[25:26], v[25:26], s[14:15], v[27:28]
	v_fma_f64 v[27:28], v[68:69], s[18:19], v[36:37]
	v_mul_f64_e32 v[29:30], s[18:19], v[25:26]
	s_delay_alu instid0(VALU_DEP_2) | instskip(SKIP_1) | instid1(VALU_DEP_2)
	v_fma_f64 v[27:28], v[78:79], s[2:3], v[27:28]
	v_mul_f64_e32 v[25:26], s[20:21], v[25:26]
	v_fma_f64 v[27:28], v[56:57], s[14:15], v[27:28]
	s_delay_alu instid0(VALU_DEP_1) | instskip(NEXT) | instid1(VALU_DEP_3)
	v_fma_f64 v[29:30], v[27:28], s[20:21], v[29:30]
	v_fma_f64 v[36:37], v[27:28], s[16:17], v[25:26]
	s_delay_alu instid0(VALU_DEP_2) | instskip(NEXT) | instid1(VALU_DEP_2)
	v_add_f64_e32 v[25:26], v[31:32], v[29:30]
	v_add_f64_e32 v[27:28], v[48:49], v[36:37]
	v_add_f64_e64 v[29:30], v[31:32], -v[29:30]
	v_add_f64_e64 v[31:32], v[48:49], -v[36:37]
	v_fma_f64 v[36:37], v[60:61], s[18:19], v[42:43]
	s_delay_alu instid0(VALU_DEP_1) | instskip(SKIP_3) | instid1(VALU_DEP_4)
	v_fma_f64 v[35:36], v[76:77], s[12:13], v[36:37]
	v_fma_f64 v[37:38], v[52:53], s[12:13], v[38:39]
	;; [unrolled: 1-line block ×5, first 2 shown]
	s_delay_alu instid0(VALU_DEP_4) | instskip(NEXT) | instid1(VALU_DEP_4)
	v_fma_f64 v[43:44], v[54:55], s[14:15], v[37:38]
	v_fma_f64 v[33:34], v[62:63], s[14:15], v[39:40]
	s_delay_alu instid0(VALU_DEP_3) | instskip(SKIP_1) | instid1(VALU_DEP_2)
	v_mul_f64_e32 v[37:38], s[12:13], v[35:36]
	v_mul_f64_e32 v[35:36], s[22:23], v[35:36]
	v_fma_f64 v[37:38], v[33:34], s[22:23], v[37:38]
	s_delay_alu instid0(VALU_DEP_2) | instskip(NEXT) | instid1(VALU_DEP_2)
	v_fma_f64 v[39:40], v[33:34], s[2:3], v[35:36]
	v_add_f64_e32 v[33:34], v[41:42], v[37:38]
	s_delay_alu instid0(VALU_DEP_2)
	v_add_f64_e32 v[35:36], v[43:44], v[39:40]
	v_add_f64_e64 v[37:38], v[41:42], -v[37:38]
	v_add_f64_e64 v[39:40], v[43:44], -v[39:40]
	ds_store_b128 v204, v[0:3]
	ds_store_b128 v204, v[8:11] offset:16
	ds_store_b128 v204, v[16:19] offset:32
	ds_store_b128 v204, v[25:28] offset:48
	ds_store_b128 v204, v[33:36] offset:64
	ds_store_b128 v204, v[4:7] offset:80
	ds_store_b128 v204, v[12:15] offset:96
	ds_store_b128 v204, v[21:24] offset:112
	ds_store_b128 v204, v[29:32] offset:128
	ds_store_b128 v204, v[37:40] offset:144
	global_wb scope:SCOPE_SE
	s_wait_dscnt 0x0
	s_barrier_signal -1
	s_barrier_wait -1
	global_inv scope:SCOPE_SE
	scratch_load_b128 v[6:9], off, off offset:496 th:TH_LOAD_LU ; 16-byte Folded Reload
	ds_load_b128 v[0:3], v20 offset:5760
	s_wait_loadcnt_dscnt 0x0
	v_mul_f64_e32 v[4:5], v[8:9], v[2:3]
	s_delay_alu instid0(VALU_DEP_1) | instskip(SKIP_1) | instid1(VALU_DEP_1)
	v_fma_f64 v[94:95], v[6:7], v[0:1], v[4:5]
	v_mul_f64_e32 v[0:1], v[8:9], v[0:1]
	v_fma_f64 v[96:97], v[6:7], v[2:3], -v[0:1]
	scratch_load_b128 v[6:9], off, off offset:512 th:TH_LOAD_LU ; 16-byte Folded Reload
	ds_load_b128 v[0:3], v20 offset:11520
	s_wait_loadcnt_dscnt 0x0
	v_mul_f64_e32 v[4:5], v[8:9], v[2:3]
	s_delay_alu instid0(VALU_DEP_1) | instskip(SKIP_1) | instid1(VALU_DEP_1)
	v_fma_f64 v[98:99], v[6:7], v[0:1], v[4:5]
	v_mul_f64_e32 v[0:1], v[8:9], v[0:1]
	v_fma_f64 v[100:101], v[6:7], v[2:3], -v[0:1]
	scratch_load_b128 v[6:9], off, off offset:528 th:TH_LOAD_LU ; 16-byte Folded Reload
	ds_load_b128 v[0:3], v20 offset:17280
	s_wait_loadcnt_dscnt 0x0
	v_mul_f64_e32 v[4:5], v[8:9], v[2:3]
	s_delay_alu instid0(VALU_DEP_1) | instskip(SKIP_1) | instid1(VALU_DEP_1)
	v_fma_f64 v[102:103], v[6:7], v[0:1], v[4:5]
	v_mul_f64_e32 v[0:1], v[8:9], v[0:1]
	v_fma_f64 v[104:105], v[6:7], v[2:3], -v[0:1]
	scratch_load_b128 v[6:9], off, off offset:544 th:TH_LOAD_LU ; 16-byte Folded Reload
	ds_load_b128 v[0:3], v20 offset:23040
	s_wait_loadcnt_dscnt 0x0
	v_mul_f64_e32 v[4:5], v[8:9], v[2:3]
	s_delay_alu instid0(VALU_DEP_1) | instskip(SKIP_1) | instid1(VALU_DEP_1)
	v_fma_f64 v[106:107], v[6:7], v[0:1], v[4:5]
	v_mul_f64_e32 v[0:1], v[8:9], v[0:1]
	v_fma_f64 v[108:109], v[6:7], v[2:3], -v[0:1]
	scratch_load_b128 v[6:9], off, off offset:560 th:TH_LOAD_LU ; 16-byte Folded Reload
	ds_load_b128 v[0:3], v20 offset:28800
	s_wait_loadcnt_dscnt 0x0
	v_mul_f64_e32 v[4:5], v[8:9], v[2:3]
	s_delay_alu instid0(VALU_DEP_1) | instskip(SKIP_1) | instid1(VALU_DEP_1)
	v_fma_f64 v[110:111], v[6:7], v[0:1], v[4:5]
	v_mul_f64_e32 v[0:1], v[8:9], v[0:1]
	v_fma_f64 v[112:113], v[6:7], v[2:3], -v[0:1]
	scratch_load_b128 v[6:9], off, off offset:576 th:TH_LOAD_LU ; 16-byte Folded Reload
	ds_load_b128 v[0:3], v20 offset:34560
	s_wait_loadcnt_dscnt 0x0
	v_mul_f64_e32 v[4:5], v[8:9], v[2:3]
	s_delay_alu instid0(VALU_DEP_1) | instskip(SKIP_1) | instid1(VALU_DEP_2)
	v_fma_f64 v[114:115], v[6:7], v[0:1], v[4:5]
	v_mul_f64_e32 v[0:1], v[8:9], v[0:1]
	v_add_f64_e64 v[206:207], v[106:107], -v[114:115]
	s_delay_alu instid0(VALU_DEP_2)
	v_fma_f64 v[116:117], v[6:7], v[2:3], -v[0:1]
	scratch_load_b128 v[6:9], off, off offset:592 th:TH_LOAD_LU ; 16-byte Folded Reload
	ds_load_b128 v[0:3], v20 offset:40320
	v_add_f64_e64 v[166:167], v[108:109], -v[116:117]
	s_wait_loadcnt_dscnt 0x0
	v_mul_f64_e32 v[4:5], v[8:9], v[2:3]
	s_delay_alu instid0(VALU_DEP_1) | instskip(SKIP_1) | instid1(VALU_DEP_2)
	v_fma_f64 v[118:119], v[6:7], v[0:1], v[4:5]
	v_mul_f64_e32 v[0:1], v[8:9], v[0:1]
	v_add_f64_e64 v[148:149], v[110:111], -v[118:119]
	s_delay_alu instid0(VALU_DEP_2)
	v_fma_f64 v[120:121], v[6:7], v[2:3], -v[0:1]
	scratch_load_b128 v[6:9], off, off offset:608 th:TH_LOAD_LU ; 16-byte Folded Reload
	ds_load_b128 v[0:3], v20 offset:46080
	v_add_f64_e64 v[152:153], v[112:113], -v[120:121]
	;; [unrolled: 11-line block ×4, first 2 shown]
	v_add_f64_e64 v[150:151], v[104:105], -v[128:129]
	s_wait_loadcnt_dscnt 0x0
	v_mul_f64_e32 v[4:5], v[8:9], v[2:3]
	s_delay_alu instid0(VALU_DEP_1) | instskip(SKIP_1) | instid1(VALU_DEP_1)
	v_fma_f64 v[64:65], v[6:7], v[0:1], v[4:5]
	v_mul_f64_e32 v[0:1], v[8:9], v[0:1]
	v_fma_f64 v[62:63], v[6:7], v[2:3], -v[0:1]
	scratch_load_b128 v[6:9], off, off offset:656 th:TH_LOAD_LU ; 16-byte Folded Reload
	ds_load_b128 v[0:3], v20 offset:13440
	s_wait_loadcnt_dscnt 0x0
	v_mul_f64_e32 v[4:5], v[8:9], v[2:3]
	s_delay_alu instid0(VALU_DEP_1) | instskip(SKIP_1) | instid1(VALU_DEP_1)
	v_fma_f64 v[56:57], v[6:7], v[0:1], v[4:5]
	v_mul_f64_e32 v[0:1], v[8:9], v[0:1]
	v_fma_f64 v[58:59], v[6:7], v[2:3], -v[0:1]
	scratch_load_b128 v[6:9], off, off offset:672 th:TH_LOAD_LU ; 16-byte Folded Reload
	ds_load_b128 v[0:3], v20 offset:19200
	;; [unrolled: 8-line block ×7, first 2 shown]
	s_wait_loadcnt_dscnt 0x0
	v_mul_f64_e32 v[4:5], v[8:9], v[2:3]
	s_delay_alu instid0(VALU_DEP_1)
	v_fma_f64 v[4:5], v[6:7], v[0:1], v[4:5]
	v_mul_f64_e32 v[0:1], v[8:9], v[0:1]
	scratch_load_b128 v[8:11], off, off offset:768 th:TH_LOAD_LU ; 16-byte Folded Reload
	v_fma_f64 v[76:77], v[6:7], v[2:3], -v[0:1]
	ds_load_b128 v[0:3], v20 offset:53760
	s_wait_loadcnt_dscnt 0x0
	v_mul_f64_e32 v[6:7], v[10:11], v[2:3]
	s_delay_alu instid0(VALU_DEP_1)
	v_fma_f64 v[74:75], v[8:9], v[0:1], v[6:7]
	v_mul_f64_e32 v[0:1], v[10:11], v[0:1]
	scratch_load_b128 v[10:13], off, off offset:784 th:TH_LOAD_LU ; 16-byte Folded Reload
	v_fma_f64 v[6:7], v[8:9], v[2:3], -v[0:1]
	ds_load_b128 v[0:3], v20 offset:9600
	s_wait_loadcnt_dscnt 0x0
	v_mul_f64_e32 v[8:9], v[12:13], v[2:3]
	s_delay_alu instid0(VALU_DEP_1) | instskip(SKIP_1) | instid1(VALU_DEP_1)
	v_fma_f64 v[72:73], v[10:11], v[0:1], v[8:9]
	v_mul_f64_e32 v[0:1], v[12:13], v[0:1]
	v_fma_f64 v[70:71], v[10:11], v[2:3], -v[0:1]
	scratch_load_b128 v[10:13], off, off offset:800 th:TH_LOAD_LU ; 16-byte Folded Reload
	ds_load_b128 v[0:3], v20 offset:15360
	s_wait_loadcnt_dscnt 0x0
	v_mul_f64_e32 v[8:9], v[12:13], v[2:3]
	s_delay_alu instid0(VALU_DEP_1) | instskip(SKIP_1) | instid1(VALU_DEP_1)
	v_fma_f64 v[52:53], v[10:11], v[0:1], v[8:9]
	v_mul_f64_e32 v[0:1], v[12:13], v[0:1]
	v_fma_f64 v[54:55], v[10:11], v[2:3], -v[0:1]
	scratch_load_b128 v[10:13], off, off offset:816 th:TH_LOAD_LU ; 16-byte Folded Reload
	ds_load_b128 v[0:3], v20 offset:21120
	s_wait_loadcnt_dscnt 0x0
	v_mul_f64_e32 v[8:9], v[12:13], v[2:3]
	s_delay_alu instid0(VALU_DEP_1) | instskip(SKIP_1) | instid1(VALU_DEP_1)
	v_fma_f64 v[26:27], v[10:11], v[0:1], v[8:9]
	v_mul_f64_e32 v[0:1], v[12:13], v[0:1]
	v_fma_f64 v[60:61], v[10:11], v[2:3], -v[0:1]
	scratch_load_b128 v[10:13], off, off offset:832 th:TH_LOAD_LU ; 16-byte Folded Reload
	ds_load_b128 v[0:3], v20 offset:26880
	s_wait_loadcnt_dscnt 0x0
	v_mul_f64_e32 v[8:9], v[12:13], v[2:3]
	s_delay_alu instid0(VALU_DEP_1) | instskip(SKIP_1) | instid1(VALU_DEP_1)
	v_fma_f64 v[28:29], v[10:11], v[0:1], v[8:9]
	v_mul_f64_e32 v[0:1], v[12:13], v[0:1]
	v_fma_f64 v[30:31], v[10:11], v[2:3], -v[0:1]
	scratch_load_b128 v[10:13], off, off offset:848 th:TH_LOAD_LU ; 16-byte Folded Reload
	ds_load_b128 v[0:3], v20 offset:32640
	s_wait_loadcnt_dscnt 0x0
	v_mul_f64_e32 v[8:9], v[12:13], v[2:3]
	s_delay_alu instid0(VALU_DEP_1) | instskip(SKIP_1) | instid1(VALU_DEP_1)
	v_fma_f64 v[34:35], v[10:11], v[0:1], v[8:9]
	v_mul_f64_e32 v[0:1], v[12:13], v[0:1]
	v_fma_f64 v[32:33], v[10:11], v[2:3], -v[0:1]
	scratch_load_b128 v[10:13], off, off offset:864 th:TH_LOAD_LU ; 16-byte Folded Reload
	ds_load_b128 v[0:3], v20 offset:38400
	s_wait_loadcnt_dscnt 0x0
	v_mul_f64_e32 v[8:9], v[12:13], v[2:3]
	s_delay_alu instid0(VALU_DEP_1) | instskip(SKIP_1) | instid1(VALU_DEP_1)
	v_fma_f64 v[38:39], v[10:11], v[0:1], v[8:9]
	v_mul_f64_e32 v[0:1], v[12:13], v[0:1]
	v_fma_f64 v[40:41], v[10:11], v[2:3], -v[0:1]
	scratch_load_b128 v[10:13], off, off offset:880 th:TH_LOAD_LU ; 16-byte Folded Reload
	ds_load_b128 v[0:3], v20 offset:44160
	s_wait_loadcnt_dscnt 0x0
	v_mul_f64_e32 v[8:9], v[12:13], v[2:3]
	s_delay_alu instid0(VALU_DEP_1) | instskip(SKIP_1) | instid1(VALU_DEP_1)
	v_fma_f64 v[42:43], v[10:11], v[0:1], v[8:9]
	v_mul_f64_e32 v[0:1], v[12:13], v[0:1]
	v_fma_f64 v[36:37], v[10:11], v[2:3], -v[0:1]
	scratch_load_b128 v[10:13], off, off offset:896 th:TH_LOAD_LU ; 16-byte Folded Reload
	ds_load_b128 v[0:3], v20 offset:49920
	s_wait_loadcnt_dscnt 0x0
	v_mul_f64_e32 v[8:9], v[12:13], v[2:3]
	s_delay_alu instid0(VALU_DEP_1) | instskip(SKIP_1) | instid1(VALU_DEP_1)
	v_fma_f64 v[46:47], v[10:11], v[0:1], v[8:9]
	v_mul_f64_e32 v[0:1], v[12:13], v[0:1]
	v_fma_f64 v[48:49], v[10:11], v[2:3], -v[0:1]
	scratch_load_b128 v[10:13], off, off offset:912 th:TH_LOAD_LU ; 16-byte Folded Reload
	ds_load_b128 v[0:3], v20 offset:55680
	s_wait_loadcnt_dscnt 0x0
	v_mul_f64_e32 v[8:9], v[12:13], v[2:3]
	s_delay_alu instid0(VALU_DEP_1) | instskip(SKIP_3) | instid1(VALU_DEP_3)
	v_fma_f64 v[50:51], v[10:11], v[0:1], v[8:9]
	v_mul_f64_e32 v[0:1], v[12:13], v[0:1]
	v_add_f64_e32 v[8:9], v[106:107], v[114:115]
	v_add_f64_e64 v[12:13], v[124:125], -v[116:117]
	v_fma_f64 v[44:45], v[10:11], v[2:3], -v[0:1]
	ds_load_b128 v[0:3], v20
	v_add_f64_e32 v[10:11], v[96:97], v[104:105]
	s_wait_dscnt 0x0
	v_fma_f64 v[130:131], v[8:9], -0.5, v[0:1]
	v_add_f64_e32 v[8:9], v[98:99], v[122:123]
	s_delay_alu instid0(VALU_DEP_3) | instskip(NEXT) | instid1(VALU_DEP_2)
	v_add_f64_e32 v[10:11], v[10:11], v[112:113]
	v_fma_f64 v[132:133], v[8:9], -0.5, v[0:1]
	v_add_f64_e32 v[8:9], v[108:109], v[116:117]
	v_add_f64_e32 v[0:1], v[0:1], v[98:99]
	s_delay_alu instid0(VALU_DEP_4) | instskip(NEXT) | instid1(VALU_DEP_3)
	v_add_f64_e32 v[10:11], v[10:11], v[120:121]
	v_fma_f64 v[134:135], v[8:9], -0.5, v[2:3]
	v_add_f64_e32 v[8:9], v[100:101], v[124:125]
	s_delay_alu instid0(VALU_DEP_4) | instskip(NEXT) | instid1(VALU_DEP_4)
	v_add_f64_e32 v[0:1], v[0:1], v[106:107]
	v_add_f64_e32 v[10:11], v[10:11], v[128:129]
	s_delay_alu instid0(VALU_DEP_3) | instskip(SKIP_3) | instid1(VALU_DEP_3)
	v_fma_f64 v[136:137], v[8:9], -0.5, v[2:3]
	v_add_f64_e32 v[2:3], v[2:3], v[100:101]
	v_add_f64_e32 v[8:9], v[94:95], v[102:103]
	;; [unrolled: 1-line block ×4, first 2 shown]
	s_delay_alu instid0(VALU_DEP_3) | instskip(NEXT) | instid1(VALU_DEP_3)
	v_add_f64_e32 v[8:9], v[8:9], v[110:111]
	v_add_f64_e32 v[0:1], v[0:1], v[122:123]
	s_delay_alu instid0(VALU_DEP_3) | instskip(NEXT) | instid1(VALU_DEP_3)
	v_add_f64_e32 v[2:3], v[2:3], v[116:117]
	v_add_f64_e32 v[8:9], v[8:9], v[118:119]
	s_delay_alu instid0(VALU_DEP_2) | instskip(NEXT) | instid1(VALU_DEP_2)
	v_add_f64_e32 v[2:3], v[2:3], v[124:125]
	v_add_f64_e32 v[8:9], v[8:9], v[126:127]
	s_delay_alu instid0(VALU_DEP_2) | instskip(NEXT) | instid1(VALU_DEP_2)
	v_add_f64_e32 v[68:69], v[2:3], v[10:11]
	v_add_f64_e32 v[66:67], v[0:1], v[8:9]
	v_add_f64_e64 v[8:9], v[0:1], -v[8:9]
	v_add_f64_e64 v[10:11], v[2:3], -v[10:11]
	v_add_f64_e64 v[0:1], v[98:99], -v[106:107]
	v_add_f64_e64 v[2:3], v[122:123], -v[114:115]
	v_add_f64_e64 v[98:99], v[106:107], -v[98:99]
	v_add_f64_e64 v[106:107], v[114:115], -v[122:123]
	v_add_f64_e64 v[114:115], v[118:119], -v[126:127]
	v_add_f64_e64 v[122:123], v[58:59], -v[76:77]
	v_add_f64_e32 v[0:1], v[0:1], v[2:3]
	v_add_f64_e64 v[2:3], v[100:101], -v[108:109]
	v_add_f64_e64 v[100:101], v[108:109], -v[100:101]
	;; [unrolled: 1-line block ×4, first 2 shown]
	v_add_f64_e32 v[106:107], v[98:99], v[106:107]
	v_add_f64_e64 v[124:125], v[84:85], -v[80:81]
	v_add_f64_e32 v[2:3], v[2:3], v[12:13]
	v_add_f64_e64 v[12:13], v[102:103], -v[110:111]
	v_add_f64_e32 v[108:109], v[100:101], v[108:109]
	s_delay_alu instid0(VALU_DEP_2) | instskip(SKIP_2) | instid1(VALU_DEP_1)
	v_add_f64_e32 v[138:139], v[12:13], v[14:15]
	v_add_f64_e64 v[12:13], v[104:105], -v[112:113]
	v_add_f64_e64 v[14:15], v[128:129], -v[120:121]
	v_add_f64_e32 v[140:141], v[12:13], v[14:15]
	v_add_f64_e32 v[12:13], v[110:111], v[118:119]
	v_add_f64_e64 v[110:111], v[110:111], -v[102:103]
	v_add_f64_e32 v[102:103], v[102:103], v[126:127]
	v_add_f64_e64 v[126:127], v[56:57], -v[4:5]
	s_delay_alu instid0(VALU_DEP_4)
	v_fma_f64 v[142:143], v[12:13], -0.5, v[94:95]
	v_add_f64_e32 v[12:13], v[112:113], v[120:121]
	v_add_f64_e64 v[112:113], v[112:113], -v[104:105]
	v_add_f64_e32 v[104:105], v[104:105], v[128:129]
	v_fma_f64 v[102:103], v[102:103], -0.5, v[94:95]
	v_add_f64_e32 v[110:111], v[110:111], v[114:115]
	v_add_f64_e64 v[128:129], v[22:23], -v[16:17]
	v_fma_f64 v[14:15], v[150:151], s[18:19], v[142:143]
	v_fma_f64 v[144:145], v[12:13], -0.5, v[96:97]
	v_add_f64_e32 v[112:113], v[112:113], v[116:117]
	v_fma_f64 v[104:105], v[104:105], -0.5, v[96:97]
	v_fma_f64 v[96:97], v[152:153], s[16:17], v[102:103]
	v_fma_f64 v[102:103], v[152:153], s[18:19], v[102:103]
	;; [unrolled: 1-line block ×16, first 2 shown]
	s_delay_alu instid0(VALU_DEP_4) | instskip(NEXT) | instid1(VALU_DEP_3)
	v_fma_f64 v[104:105], v[112:113], s[14:15], v[104:105]
	v_mul_f64_e32 v[90:91], s[12:13], v[12:13]
	v_mul_f64_e32 v[12:13], s[24:25], v[12:13]
	s_delay_alu instid0(VALU_DEP_4)
	v_mul_f64_e32 v[98:99], s[18:19], v[94:95]
	v_mul_f64_e32 v[94:95], s[14:15], v[94:95]
	;; [unrolled: 1-line block ×4, first 2 shown]
	v_fma_f64 v[154:155], v[14:15], s[24:25], v[90:91]
	v_fma_f64 v[14:15], v[14:15], s[2:3], v[12:13]
	;; [unrolled: 1-line block ×12, first 2 shown]
	s_delay_alu instid0(VALU_DEP_4) | instskip(NEXT) | instid1(VALU_DEP_4)
	v_fma_f64 v[12:13], v[166:167], s[12:13], v[12:13]
	v_fma_f64 v[90:91], v[206:207], s[2:3], v[90:91]
	s_delay_alu instid0(VALU_DEP_4) | instskip(NEXT) | instid1(VALU_DEP_4)
	v_fma_f64 v[114:115], v[106:107], s[14:15], v[94:95]
	v_fma_f64 v[116:117], v[108:109], s[14:15], v[96:97]
	;; [unrolled: 3-line block ×3, first 2 shown]
	s_delay_alu instid0(VALU_DEP_4)
	v_add_f64_e32 v[94:95], v[114:115], v[98:99]
	v_add_f64_e64 v[98:99], v[114:115], -v[98:99]
	v_fma_f64 v[114:115], v[166:167], s[18:19], v[132:133]
	v_add_f64_e32 v[96:97], v[116:117], v[100:101]
	v_add_f64_e64 v[100:101], v[116:117], -v[100:101]
	v_fma_f64 v[116:117], v[150:151], s[16:17], v[142:143]
	v_add_f64_e32 v[90:91], v[12:13], v[154:155]
	v_add_f64_e32 v[92:93], v[209:210], v[14:15]
	v_add_f64_e64 v[12:13], v[12:13], -v[154:155]
	v_add_f64_e64 v[14:15], v[209:210], -v[14:15]
	v_fma_f64 v[114:115], v[156:157], s[2:3], v[114:115]
	v_fma_f64 v[116:117], v[152:153], s[2:3], v[116:117]
	s_delay_alu instid0(VALU_DEP_2) | instskip(SKIP_1) | instid1(VALU_DEP_2)
	v_fma_f64 v[106:107], v[106:107], s[14:15], v[114:115]
	v_fma_f64 v[114:115], v[206:207], s[16:17], v[136:137]
	v_add_f64_e32 v[102:103], v[106:107], v[110:111]
	s_delay_alu instid0(VALU_DEP_2) | instskip(SKIP_2) | instid1(VALU_DEP_3)
	v_fma_f64 v[114:115], v[168:169], s[12:13], v[114:115]
	v_add_f64_e64 v[106:107], v[106:107], -v[110:111]
	v_fma_f64 v[110:111], v[146:147], s[18:19], v[144:145]
	v_fma_f64 v[108:109], v[108:109], s[14:15], v[114:115]
	;; [unrolled: 1-line block ×3, first 2 shown]
	s_delay_alu instid0(VALU_DEP_3) | instskip(NEXT) | instid1(VALU_DEP_3)
	v_fma_f64 v[110:111], v[148:149], s[12:13], v[110:111]
	v_add_f64_e32 v[104:105], v[108:109], v[112:113]
	v_add_f64_e64 v[108:109], v[108:109], -v[112:113]
	v_fma_f64 v[112:113], v[156:157], s[16:17], v[130:131]
	v_fma_f64 v[114:115], v[206:207], s[12:13], v[114:115]
	;; [unrolled: 1-line block ×3, first 2 shown]
	s_delay_alu instid0(VALU_DEP_3) | instskip(NEXT) | instid1(VALU_DEP_3)
	v_fma_f64 v[112:113], v[166:167], s[2:3], v[112:113]
	v_fma_f64 v[2:3], v[2:3], s[14:15], v[114:115]
	s_delay_alu instid0(VALU_DEP_3) | instskip(SKIP_1) | instid1(VALU_DEP_4)
	v_mul_f64_e32 v[114:115], s[12:13], v[110:111]
	v_mul_f64_e32 v[110:111], s[22:23], v[110:111]
	v_fma_f64 v[0:1], v[0:1], s[14:15], v[112:113]
	v_fma_f64 v[112:113], v[138:139], s[14:15], v[116:117]
	s_delay_alu instid0(VALU_DEP_1) | instskip(NEXT) | instid1(VALU_DEP_4)
	v_fma_f64 v[114:115], v[112:113], s[22:23], v[114:115]
	v_fma_f64 v[116:117], v[112:113], s[2:3], v[110:111]
	s_delay_alu instid0(VALU_DEP_2) | instskip(NEXT) | instid1(VALU_DEP_2)
	v_add_f64_e32 v[110:111], v[0:1], v[114:115]
	v_add_f64_e32 v[112:113], v[2:3], v[116:117]
	v_add_f64_e64 v[114:115], v[0:1], -v[114:115]
	v_add_f64_e64 v[116:117], v[2:3], -v[116:117]
	ds_load_b128 v[0:3], v20 offset:3840
	ds_load_b128 v[118:121], v20 offset:1920
	global_wb scope:SCOPE_SE
	s_wait_dscnt 0x0
	s_barrier_signal -1
	s_barrier_wait -1
	global_inv scope:SCOPE_SE
	ds_store_b128 v208, v[66:69]
	ds_store_b128 v208, v[8:11] offset:800
	ds_store_b128 v208, v[90:93] offset:160
	;; [unrolled: 1-line block ×9, first 2 shown]
	v_add_f64_e32 v[8:9], v[22:23], v[16:17]
	v_add_f64_e32 v[10:11], v[120:121], v[58:59]
	;; [unrolled: 1-line block ×4, first 2 shown]
	v_add_f64_e64 v[114:115], v[86:87], -v[74:75]
	v_add_f64_e64 v[116:117], v[82:83], -v[78:79]
	v_fma_f64 v[94:95], v[8:9], -0.5, v[118:119]
	v_add_f64_e32 v[8:9], v[56:57], v[4:5]
	v_add_f64_e32 v[10:11], v[10:11], v[84:85]
	;; [unrolled: 1-line block ×4, first 2 shown]
	s_delay_alu instid0(VALU_DEP_4) | instskip(SKIP_4) | instid1(VALU_DEP_4)
	v_fma_f64 v[96:97], v[8:9], -0.5, v[118:119]
	v_add_f64_e32 v[8:9], v[84:85], v[80:81]
	v_add_f64_e32 v[10:11], v[10:11], v[80:81]
	;; [unrolled: 1-line block ×4, first 2 shown]
	v_fma_f64 v[98:99], v[8:9], -0.5, v[120:121]
	v_add_f64_e32 v[8:9], v[58:59], v[76:77]
	v_add_f64_e32 v[68:69], v[10:11], v[76:77]
	;; [unrolled: 1-line block ×4, first 2 shown]
	s_delay_alu instid0(VALU_DEP_4) | instskip(SKIP_2) | instid1(VALU_DEP_4)
	v_fma_f64 v[100:101], v[8:9], -0.5, v[120:121]
	v_add_f64_e32 v[8:9], v[118:119], v[56:57]
	v_add_f64_e64 v[118:119], v[24:25], -v[6:7]
	v_add_f64_e32 v[10:11], v[68:69], v[14:15]
	v_add_f64_e64 v[14:15], v[68:69], -v[14:15]
	v_add_f64_e64 v[68:69], v[4:5], -v[16:17]
	;; [unrolled: 1-line block ×3, first 2 shown]
	v_add_f64_e32 v[8:9], v[8:9], v[22:23]
	s_delay_alu instid0(VALU_DEP_1) | instskip(NEXT) | instid1(VALU_DEP_1)
	v_add_f64_e32 v[8:9], v[8:9], v[16:17]
	v_add_f64_e32 v[66:67], v[8:9], v[4:5]
	v_add_f64_e64 v[4:5], v[16:17], -v[4:5]
	v_add_f64_e64 v[16:17], v[84:85], -v[58:59]
	s_delay_alu instid0(VALU_DEP_3) | instskip(SKIP_4) | instid1(VALU_DEP_3)
	v_add_f64_e32 v[8:9], v[66:67], v[12:13]
	v_add_f64_e64 v[12:13], v[66:67], -v[12:13]
	v_add_f64_e64 v[66:67], v[56:57], -v[22:23]
	;; [unrolled: 1-line block ×4, first 2 shown]
	v_add_f64_e32 v[102:103], v[66:67], v[68:69]
	v_add_f64_e64 v[66:67], v[58:59], -v[84:85]
	v_add_f64_e64 v[68:69], v[76:77], -v[80:81]
	v_add_f64_e32 v[76:77], v[86:87], v[74:75]
	v_add_f64_e32 v[21:22], v[21:22], v[4:5]
	v_add_f64_e64 v[58:59], v[82:83], -v[86:87]
	v_add_f64_e32 v[56:57], v[16:17], v[56:57]
	v_add_f64_e64 v[84:85], v[34:35], -v[42:43]
	;; [unrolled: 2-line block ×3, first 2 shown]
	v_add_f64_e64 v[68:69], v[74:75], -v[78:79]
	v_add_f64_e64 v[74:75], v[78:79], -v[74:75]
	;; [unrolled: 1-line block ×3, first 2 shown]
	s_delay_alu instid0(VALU_DEP_3) | instskip(SKIP_3) | instid1(VALU_DEP_2)
	v_add_f64_e32 v[106:107], v[66:67], v[68:69]
	v_add_f64_e64 v[66:67], v[24:25], -v[88:89]
	v_add_f64_e64 v[68:69], v[6:7], -v[18:19]
	v_add_f64_e32 v[58:59], v[58:59], v[74:75]
	v_add_f64_e32 v[108:109], v[66:67], v[68:69]
	;; [unrolled: 1-line block ×3, first 2 shown]
	v_add_f64_e64 v[78:79], v[88:89], -v[24:25]
	v_add_f64_e32 v[23:24], v[24:25], v[6:7]
	v_add_f64_e64 v[6:7], v[18:19], -v[6:7]
	v_add_f64_e64 v[82:83], v[26:27], -v[50:51]
	v_fma_f64 v[110:111], v[66:67], -0.5, v[64:65]
	v_add_f64_e32 v[66:67], v[88:89], v[18:19]
	v_fma_f64 v[23:24], v[23:24], -0.5, v[62:63]
	v_add_f64_e64 v[88:89], v[32:33], -v[36:37]
	s_delay_alu instid0(VALU_DEP_4) | instskip(NEXT) | instid1(VALU_DEP_4)
	v_fma_f64 v[68:69], v[118:119], s[18:19], v[110:111]
	v_fma_f64 v[112:113], v[66:67], -0.5, v[62:63]
	v_fma_f64 v[62:63], v[76:77], -0.5, v[64:65]
	v_fma_f64 v[4:5], v[116:117], s[18:19], v[23:24]
	v_add_f64_e32 v[64:65], v[78:79], v[6:7]
	v_fma_f64 v[68:69], v[120:121], s[12:13], v[68:69]
	v_fma_f64 v[66:67], v[114:115], s[16:17], v[112:113]
	;; [unrolled: 1-line block ×4, first 2 shown]
	s_delay_alu instid0(VALU_DEP_4) | instskip(NEXT) | instid1(VALU_DEP_4)
	v_fma_f64 v[68:69], v[106:107], s[14:15], v[68:69]
	v_fma_f64 v[66:67], v[116:117], s[2:3], v[66:67]
	s_delay_alu instid0(VALU_DEP_4) | instskip(NEXT) | instid1(VALU_DEP_4)
	v_fma_f64 v[6:7], v[118:119], s[12:13], v[6:7]
	v_fma_f64 v[4:5], v[64:65], s[14:15], v[4:5]
	s_delay_alu instid0(VALU_DEP_3) | instskip(NEXT) | instid1(VALU_DEP_3)
	v_fma_f64 v[66:67], v[108:109], s[14:15], v[66:67]
	v_fma_f64 v[6:7], v[58:59], s[14:15], v[6:7]
	s_delay_alu instid0(VALU_DEP_3) | instskip(SKIP_1) | instid1(VALU_DEP_4)
	v_mul_f64_e32 v[16:17], s[18:19], v[4:5]
	v_mul_f64_e32 v[4:5], s[14:15], v[4:5]
	;; [unrolled: 1-line block ×4, first 2 shown]
	s_delay_alu instid0(VALU_DEP_4) | instskip(NEXT) | instid1(VALU_DEP_4)
	v_fma_f64 v[16:17], v[6:7], s[14:15], v[16:17]
	v_fma_f64 v[18:19], v[6:7], s[16:17], v[4:5]
	;; [unrolled: 1-line block ×10, first 2 shown]
	s_delay_alu instid0(VALU_DEP_4) | instskip(NEXT) | instid1(VALU_DEP_4)
	v_fma_f64 v[66:67], v[124:125], s[12:13], v[66:67]
	v_fma_f64 v[68:69], v[128:129], s[2:3], v[68:69]
	s_delay_alu instid0(VALU_DEP_4) | instskip(NEXT) | instid1(VALU_DEP_4)
	v_fma_f64 v[74:75], v[21:22], s[14:15], v[4:5]
	v_fma_f64 v[76:77], v[56:57], s[14:15], v[6:7]
	;; [unrolled: 3-line block ×3, first 2 shown]
	s_delay_alu instid0(VALU_DEP_4)
	v_add_f64_e32 v[4:5], v[74:75], v[16:17]
	v_add_f64_e64 v[16:17], v[74:75], -v[16:17]
	v_fma_f64 v[74:75], v[124:125], s[18:19], v[96:97]
	v_add_f64_e32 v[6:7], v[76:77], v[18:19]
	v_add_f64_e64 v[18:19], v[76:77], -v[18:19]
	v_add_f64_e64 v[96:97], v[28:29], -v[38:39]
	v_add_f64_e32 v[66:67], v[130:131], v[90:91]
	v_add_f64_e32 v[68:69], v[132:133], v[92:93]
	v_add_f64_e64 v[90:91], v[130:131], -v[90:91]
	v_add_f64_e64 v[92:93], v[132:133], -v[92:93]
	v_fma_f64 v[74:75], v[122:123], s[2:3], v[74:75]
	s_delay_alu instid0(VALU_DEP_1) | instskip(SKIP_1) | instid1(VALU_DEP_1)
	v_fma_f64 v[74:75], v[21:22], s[14:15], v[74:75]
	v_fma_f64 v[21:22], v[128:129], s[16:17], v[100:101]
	;; [unrolled: 1-line block ×3, first 2 shown]
	s_delay_alu instid0(VALU_DEP_1) | instskip(SKIP_3) | instid1(VALU_DEP_3)
	v_fma_f64 v[76:77], v[56:57], s[14:15], v[21:22]
	v_fma_f64 v[21:22], v[116:117], s[16:17], v[23:24]
	v_fma_f64 v[23:24], v[120:121], s[18:19], v[62:63]
	v_fma_f64 v[62:63], v[114:115], s[18:19], v[112:113]
	v_fma_f64 v[21:22], v[114:115], s[12:13], v[21:22]
	s_delay_alu instid0(VALU_DEP_3) | instskip(NEXT) | instid1(VALU_DEP_3)
	v_fma_f64 v[23:24], v[118:119], s[2:3], v[23:24]
	v_fma_f64 v[62:63], v[116:117], s[12:13], v[62:63]
	s_delay_alu instid0(VALU_DEP_3) | instskip(NEXT) | instid1(VALU_DEP_3)
	v_fma_f64 v[21:22], v[64:65], s[14:15], v[21:22]
	v_fma_f64 v[23:24], v[58:59], s[14:15], v[23:24]
	;; [unrolled: 1-line block ×3, first 2 shown]
	s_delay_alu instid0(VALU_DEP_4) | instskip(SKIP_4) | instid1(VALU_DEP_3)
	v_fma_f64 v[62:63], v[108:109], s[14:15], v[62:63]
	v_add_f64_e64 v[94:95], v[52:53], -v[46:47]
	v_mul_f64_e32 v[56:57], s[18:19], v[21:22]
	v_mul_f64_e32 v[21:22], s[20:21], v[21:22]
	v_fma_f64 v[64:65], v[124:125], s[2:3], v[64:65]
	v_fma_f64 v[56:57], v[23:24], s[20:21], v[56:57]
	s_delay_alu instid0(VALU_DEP_3) | instskip(NEXT) | instid1(VALU_DEP_3)
	v_fma_f64 v[58:59], v[23:24], s[16:17], v[21:22]
	v_fma_f64 v[78:79], v[102:103], s[14:15], v[64:65]
	s_delay_alu instid0(VALU_DEP_3) | instskip(NEXT) | instid1(VALU_DEP_3)
	v_add_f64_e32 v[21:22], v[74:75], v[56:57]
	v_add_f64_e32 v[23:24], v[76:77], v[58:59]
	v_add_f64_e64 v[56:57], v[74:75], -v[56:57]
	v_add_f64_e64 v[58:59], v[76:77], -v[58:59]
	v_fma_f64 v[74:75], v[126:127], s[18:19], v[98:99]
	v_fma_f64 v[76:77], v[118:119], s[16:17], v[110:111]
	s_delay_alu instid0(VALU_DEP_2) | instskip(NEXT) | instid1(VALU_DEP_2)
	v_fma_f64 v[74:75], v[128:129], s[12:13], v[74:75]
	v_fma_f64 v[76:77], v[120:121], s[2:3], v[76:77]
	s_delay_alu instid0(VALU_DEP_2) | instskip(NEXT) | instid1(VALU_DEP_2)
	v_fma_f64 v[80:81], v[104:105], s[14:15], v[74:75]
	v_fma_f64 v[64:65], v[106:107], s[14:15], v[76:77]
	v_mul_f64_e32 v[74:75], s[12:13], v[62:63]
	v_mul_f64_e32 v[62:63], s[22:23], v[62:63]
	s_delay_alu instid0(VALU_DEP_2) | instskip(NEXT) | instid1(VALU_DEP_2)
	v_fma_f64 v[74:75], v[64:65], s[22:23], v[74:75]
	v_fma_f64 v[76:77], v[64:65], s[2:3], v[62:63]
	s_delay_alu instid0(VALU_DEP_2) | instskip(NEXT) | instid1(VALU_DEP_2)
	v_add_f64_e32 v[62:63], v[78:79], v[74:75]
	v_add_f64_e32 v[64:65], v[80:81], v[76:77]
	v_add_f64_e64 v[74:75], v[78:79], -v[74:75]
	v_add_f64_e64 v[76:77], v[80:81], -v[76:77]
	ds_store_b128 v205, v[8:11]
	ds_store_b128 v205, v[66:69] offset:160
	ds_store_b128 v205, v[4:7] offset:320
	ds_store_b128 v205, v[21:24] offset:480
	ds_store_b128 v205, v[62:65] offset:640
	ds_store_b128 v205, v[12:15] offset:800
	ds_store_b128 v205, v[90:93] offset:960
	ds_store_b128 v205, v[16:19] offset:1120
	ds_store_b128 v205, v[56:59] offset:1280
	ds_store_b128 v205, v[74:77] offset:1440
	v_add_f64_e32 v[4:5], v[28:29], v[38:39]
	v_add_f64_e32 v[6:7], v[70:71], v[60:61]
	v_add_f64_e64 v[90:91], v[54:55], -v[48:49]
	v_add_f64_e64 v[92:93], v[30:31], -v[40:41]
	;; [unrolled: 1-line block ×4, first 2 shown]
	v_fma_f64 v[56:57], v[4:5], -0.5, v[0:1]
	v_add_f64_e32 v[4:5], v[52:53], v[46:47]
	v_add_f64_e32 v[6:7], v[6:7], v[32:33]
	s_delay_alu instid0(VALU_DEP_2) | instskip(SKIP_2) | instid1(VALU_DEP_4)
	v_fma_f64 v[58:59], v[4:5], -0.5, v[0:1]
	v_add_f64_e32 v[4:5], v[30:31], v[40:41]
	v_add_f64_e32 v[0:1], v[0:1], v[52:53]
	v_add_f64_e32 v[6:7], v[6:7], v[36:37]
	s_delay_alu instid0(VALU_DEP_3) | instskip(SKIP_1) | instid1(VALU_DEP_4)
	v_fma_f64 v[62:63], v[4:5], -0.5, v[2:3]
	v_add_f64_e32 v[4:5], v[54:55], v[48:49]
	v_add_f64_e32 v[0:1], v[0:1], v[28:29]
	s_delay_alu instid0(VALU_DEP_4) | instskip(NEXT) | instid1(VALU_DEP_3)
	v_add_f64_e32 v[6:7], v[6:7], v[44:45]
	v_fma_f64 v[64:65], v[4:5], -0.5, v[2:3]
	v_add_f64_e32 v[2:3], v[2:3], v[54:55]
	v_add_f64_e32 v[4:5], v[72:73], v[26:27]
	;; [unrolled: 1-line block ×3, first 2 shown]
	s_delay_alu instid0(VALU_DEP_3) | instskip(NEXT) | instid1(VALU_DEP_3)
	v_add_f64_e32 v[2:3], v[2:3], v[30:31]
	v_add_f64_e32 v[4:5], v[4:5], v[34:35]
	s_delay_alu instid0(VALU_DEP_3) | instskip(NEXT) | instid1(VALU_DEP_3)
	v_add_f64_e32 v[8:9], v[0:1], v[46:47]
	v_add_f64_e32 v[2:3], v[2:3], v[40:41]
	s_delay_alu instid0(VALU_DEP_3) | instskip(NEXT) | instid1(VALU_DEP_2)
	v_add_f64_e32 v[4:5], v[4:5], v[42:43]
	v_add_f64_e32 v[10:11], v[2:3], v[48:49]
	s_delay_alu instid0(VALU_DEP_2) | instskip(NEXT) | instid1(VALU_DEP_2)
	v_add_f64_e32 v[4:5], v[4:5], v[50:51]
	v_add_f64_e32 v[2:3], v[10:11], v[6:7]
	s_delay_alu instid0(VALU_DEP_2) | instskip(SKIP_4) | instid1(VALU_DEP_1)
	v_add_f64_e32 v[0:1], v[8:9], v[4:5]
	v_add_f64_e64 v[4:5], v[8:9], -v[4:5]
	v_add_f64_e64 v[6:7], v[10:11], -v[6:7]
	;; [unrolled: 1-line block ×4, first 2 shown]
	v_add_f64_e32 v[66:67], v[8:9], v[10:11]
	v_add_f64_e64 v[8:9], v[54:55], -v[30:31]
	v_add_f64_e64 v[10:11], v[48:49], -v[40:41]
	;; [unrolled: 1-line block ×3, first 2 shown]
	v_add_f64_e32 v[40:41], v[21:22], v[23:24]
	s_delay_alu instid0(VALU_DEP_3) | instskip(SKIP_2) | instid1(VALU_DEP_1)
	v_add_f64_e32 v[68:69], v[8:9], v[10:11]
	v_add_f64_e64 v[8:9], v[26:27], -v[34:35]
	v_add_f64_e64 v[10:11], v[50:51], -v[42:43]
	v_add_f64_e32 v[74:75], v[8:9], v[10:11]
	v_add_f64_e64 v[8:9], v[60:61], -v[32:33]
	v_add_f64_e64 v[10:11], v[44:45], -v[36:37]
	s_delay_alu instid0(VALU_DEP_1) | instskip(SKIP_1) | instid1(VALU_DEP_1)
	v_add_f64_e32 v[76:77], v[8:9], v[10:11]
	v_add_f64_e32 v[8:9], v[34:35], v[42:43]
	v_fma_f64 v[78:79], v[8:9], -0.5, v[72:73]
	v_add_f64_e32 v[8:9], v[32:33], v[36:37]
	v_add_f64_e64 v[32:33], v[32:33], -v[60:61]
	v_add_f64_e64 v[36:37], v[36:37], -v[44:45]
	s_delay_alu instid0(VALU_DEP_4) | instskip(NEXT) | instid1(VALU_DEP_4)
	v_fma_f64 v[10:11], v[86:87], s[18:19], v[78:79]
	v_fma_f64 v[80:81], v[8:9], -0.5, v[70:71]
	s_delay_alu instid0(VALU_DEP_2) | instskip(NEXT) | instid1(VALU_DEP_2)
	v_fma_f64 v[10:11], v[88:89], s[12:13], v[10:11]
	v_fma_f64 v[8:9], v[82:83], s[16:17], v[80:81]
	s_delay_alu instid0(VALU_DEP_2) | instskip(NEXT) | instid1(VALU_DEP_2)
	v_fma_f64 v[10:11], v[74:75], s[14:15], v[10:11]
	v_fma_f64 v[8:9], v[84:85], s[2:3], v[8:9]
	s_delay_alu instid0(VALU_DEP_1) | instskip(NEXT) | instid1(VALU_DEP_1)
	v_fma_f64 v[8:9], v[76:77], s[14:15], v[8:9]
	v_mul_f64_e32 v[12:13], s[12:13], v[8:9]
	v_mul_f64_e32 v[8:9], s[24:25], v[8:9]
	s_delay_alu instid0(VALU_DEP_2) | instskip(NEXT) | instid1(VALU_DEP_2)
	v_fma_f64 v[12:13], v[10:11], s[24:25], v[12:13]
	v_fma_f64 v[14:15], v[10:11], s[2:3], v[8:9]
	;; [unrolled: 1-line block ×4, first 2 shown]
	s_delay_alu instid0(VALU_DEP_2) | instskip(NEXT) | instid1(VALU_DEP_2)
	v_fma_f64 v[8:9], v[92:93], s[12:13], v[8:9]
	v_fma_f64 v[10:11], v[96:97], s[2:3], v[10:11]
	s_delay_alu instid0(VALU_DEP_2) | instskip(NEXT) | instid1(VALU_DEP_2)
	v_fma_f64 v[16:17], v[66:67], s[14:15], v[8:9]
	v_fma_f64 v[18:19], v[68:69], s[14:15], v[10:11]
	s_delay_alu instid0(VALU_DEP_2)
	v_add_f64_e32 v[8:9], v[16:17], v[12:13]
	v_add_f64_e64 v[12:13], v[16:17], -v[12:13]
	v_add_f64_e64 v[16:17], v[28:29], -v[52:53]
	;; [unrolled: 1-line block ×3, first 2 shown]
	v_add_f64_e32 v[34:35], v[60:61], v[44:45]
	v_add_f64_e32 v[10:11], v[18:19], v[14:15]
	v_add_f64_e64 v[14:15], v[18:19], -v[14:15]
	v_add_f64_e64 v[18:19], v[38:39], -v[46:47]
	v_add_f64_e32 v[25:26], v[26:27], v[50:51]
	v_add_f64_e32 v[27:28], v[28:29], v[30:31]
	v_fma_f64 v[34:35], v[34:35], -0.5, v[70:71]
	v_add_f64_e32 v[29:30], v[32:33], v[36:37]
	v_add_f64_e32 v[38:39], v[16:17], v[18:19]
	v_fma_f64 v[25:26], v[25:26], -0.5, v[72:73]
	s_delay_alu instid0(VALU_DEP_4) | instskip(SKIP_1) | instid1(VALU_DEP_3)
	v_fma_f64 v[16:17], v[84:85], s[18:19], v[34:35]
	v_fma_f64 v[33:34], v[84:85], s[16:17], v[34:35]
	;; [unrolled: 1-line block ×4, first 2 shown]
	s_delay_alu instid0(VALU_DEP_4) | instskip(NEXT) | instid1(VALU_DEP_4)
	v_fma_f64 v[16:17], v[82:83], s[2:3], v[16:17]
	v_fma_f64 v[33:34], v[82:83], s[12:13], v[33:34]
	s_delay_alu instid0(VALU_DEP_4) | instskip(NEXT) | instid1(VALU_DEP_4)
	v_fma_f64 v[18:19], v[86:87], s[12:13], v[18:19]
	v_fma_f64 v[25:26], v[86:87], s[2:3], v[25:26]
	;; [unrolled: 3-line block ×4, first 2 shown]
	s_delay_alu instid0(VALU_DEP_4) | instskip(SKIP_3) | instid1(VALU_DEP_4)
	v_mul_f64_e32 v[21:22], s[18:19], v[16:17]
	v_mul_f64_e32 v[16:17], s[14:15], v[16:17]
	;; [unrolled: 1-line block ×4, first 2 shown]
	v_fma_f64 v[21:22], v[18:19], s[14:15], v[21:22]
	s_delay_alu instid0(VALU_DEP_4) | instskip(SKIP_3) | instid1(VALU_DEP_3)
	v_fma_f64 v[23:24], v[18:19], s[16:17], v[16:17]
	v_fma_f64 v[16:17], v[92:93], s[16:17], v[58:59]
	;; [unrolled: 1-line block ×5, first 2 shown]
	s_delay_alu instid0(VALU_DEP_3) | instskip(NEXT) | instid1(VALU_DEP_2)
	v_fma_f64 v[18:19], v[94:95], s[2:3], v[18:19]
	v_fma_f64 v[31:32], v[38:39], s[14:15], v[16:17]
	s_delay_alu instid0(VALU_DEP_2) | instskip(NEXT) | instid1(VALU_DEP_2)
	v_fma_f64 v[36:37], v[40:41], s[14:15], v[18:19]
	v_add_f64_e32 v[16:17], v[31:32], v[21:22]
	v_add_f64_e64 v[21:22], v[31:32], -v[21:22]
	v_fma_f64 v[31:32], v[92:93], s[18:19], v[58:59]
	s_delay_alu instid0(VALU_DEP_4) | instskip(SKIP_2) | instid1(VALU_DEP_4)
	v_add_f64_e32 v[18:19], v[36:37], v[23:24]
	v_add_f64_e64 v[23:24], v[36:37], -v[23:24]
	v_fma_f64 v[36:37], v[96:97], s[16:17], v[64:65]
	v_fma_f64 v[31:32], v[90:91], s[2:3], v[31:32]
	s_delay_alu instid0(VALU_DEP_2) | instskip(NEXT) | instid1(VALU_DEP_2)
	v_fma_f64 v[36:37], v[94:95], s[12:13], v[36:37]
	v_fma_f64 v[31:32], v[38:39], s[14:15], v[31:32]
	;; [unrolled: 1-line block ×3, first 2 shown]
	s_delay_alu instid0(VALU_DEP_3) | instskip(NEXT) | instid1(VALU_DEP_3)
	v_fma_f64 v[36:37], v[40:41], s[14:15], v[36:37]
	v_add_f64_e32 v[25:26], v[31:32], v[33:34]
	v_add_f64_e64 v[29:30], v[31:32], -v[33:34]
	v_fma_f64 v[33:34], v[82:83], s[18:19], v[80:81]
	s_delay_alu instid0(VALU_DEP_4)
	v_add_f64_e32 v[27:28], v[36:37], v[38:39]
	v_add_f64_e64 v[31:32], v[36:37], -v[38:39]
	v_fma_f64 v[35:36], v[90:91], s[16:17], v[56:57]
	v_fma_f64 v[37:38], v[94:95], s[18:19], v[62:63]
	;; [unrolled: 1-line block ×4, first 2 shown]
	s_delay_alu instid0(VALU_DEP_4) | instskip(NEXT) | instid1(VALU_DEP_4)
	v_fma_f64 v[35:36], v[92:93], s[2:3], v[35:36]
	v_fma_f64 v[37:38], v[96:97], s[12:13], v[37:38]
	s_delay_alu instid0(VALU_DEP_4) | instskip(NEXT) | instid1(VALU_DEP_4)
	v_fma_f64 v[39:40], v[88:89], s[2:3], v[39:40]
	v_fma_f64 v[33:34], v[76:77], s[14:15], v[33:34]
	;; [unrolled: 3-line block ×3, first 2 shown]
	s_delay_alu instid0(VALU_DEP_4) | instskip(NEXT) | instid1(VALU_DEP_4)
	v_fma_f64 v[35:36], v[74:75], s[14:15], v[39:40]
	v_mul_f64_e32 v[37:38], s[12:13], v[33:34]
	v_mul_f64_e32 v[33:34], s[22:23], v[33:34]
	s_delay_alu instid0(VALU_DEP_2) | instskip(NEXT) | instid1(VALU_DEP_2)
	v_fma_f64 v[37:38], v[35:36], s[22:23], v[37:38]
	v_fma_f64 v[39:40], v[35:36], s[2:3], v[33:34]
	s_mov_b32 s2, 0x789abcdf
	s_mov_b32 s3, 0x3f323456
	s_delay_alu instid0(VALU_DEP_2) | instskip(NEXT) | instid1(VALU_DEP_2)
	v_add_f64_e32 v[33:34], v[41:42], v[37:38]
	v_add_f64_e32 v[35:36], v[43:44], v[39:40]
	v_add_f64_e64 v[37:38], v[41:42], -v[37:38]
	v_add_f64_e64 v[39:40], v[43:44], -v[39:40]
	ds_store_b128 v171, v[0:3]
	ds_store_b128 v171, v[8:11] offset:160
	ds_store_b128 v171, v[16:19] offset:320
	;; [unrolled: 1-line block ×9, first 2 shown]
	global_wb scope:SCOPE_SE
	s_wait_dscnt 0x0
	s_barrier_signal -1
	s_barrier_wait -1
	global_inv scope:SCOPE_SE
	s_clause 0x1
	scratch_load_b128 v[6:9], off, off offset:928 th:TH_LOAD_LU
	scratch_load_b128 v[10:13], off, off offset:1264 th:TH_LOAD_LU
	ds_load_b128 v[0:3], v20 offset:9600
	s_clause 0x1
	scratch_load_b128 v[16:19], off, off offset:1280 th:TH_LOAD_LU
	scratch_load_b128 v[84:87], off, off offset:1296 th:TH_LOAD_LU
	s_wait_loadcnt_dscnt 0x300
	v_mul_f64_e32 v[4:5], v[8:9], v[2:3]
	s_delay_alu instid0(VALU_DEP_1) | instskip(SKIP_1) | instid1(VALU_DEP_1)
	v_fma_f64 v[94:95], v[6:7], v[0:1], v[4:5]
	v_mul_f64_e32 v[0:1], v[8:9], v[0:1]
	v_fma_f64 v[96:97], v[6:7], v[2:3], -v[0:1]
	scratch_load_b128 v[6:9], off, off offset:944 th:TH_LOAD_LU ; 16-byte Folded Reload
	ds_load_b128 v[0:3], v20 offset:19200
	s_wait_loadcnt_dscnt 0x0
	v_mul_f64_e32 v[4:5], v[8:9], v[2:3]
	s_delay_alu instid0(VALU_DEP_1) | instskip(SKIP_1) | instid1(VALU_DEP_1)
	v_fma_f64 v[98:99], v[6:7], v[0:1], v[4:5]
	v_mul_f64_e32 v[0:1], v[8:9], v[0:1]
	v_fma_f64 v[100:101], v[6:7], v[2:3], -v[0:1]
	scratch_load_b128 v[6:9], off, off offset:960 th:TH_LOAD_LU ; 16-byte Folded Reload
	ds_load_b128 v[0:3], v20 offset:28800
	;; [unrolled: 8-line block ×20, first 2 shown]
	s_wait_loadcnt_dscnt 0x0
	v_mul_f64_e32 v[4:5], v[8:9], v[2:3]
	s_delay_alu instid0(VALU_DEP_1) | instskip(SKIP_1) | instid1(VALU_DEP_1)
	v_fma_f64 v[4:5], v[6:7], v[0:1], v[4:5]
	v_mul_f64_e32 v[0:1], v[8:9], v[0:1]
	v_fma_f64 v[6:7], v[6:7], v[2:3], -v[0:1]
	ds_load_b128 v[0:3], v20 offset:26880
	s_wait_dscnt 0x0
	v_mul_f64_e32 v[8:9], v[12:13], v[2:3]
	s_delay_alu instid0(VALU_DEP_1) | instskip(SKIP_1) | instid1(VALU_DEP_1)
	v_fma_f64 v[8:9], v[10:11], v[0:1], v[8:9]
	v_mul_f64_e32 v[0:1], v[12:13], v[0:1]
	v_fma_f64 v[10:11], v[10:11], v[2:3], -v[0:1]
	ds_load_b128 v[0:3], v20 offset:36480
	s_wait_dscnt 0x0
	;; [unrolled: 7-line block ×3, first 2 shown]
	v_mul_f64_e32 v[16:17], v[86:87], v[2:3]
	s_delay_alu instid0(VALU_DEP_1) | instskip(SKIP_1) | instid1(VALU_DEP_1)
	v_fma_f64 v[16:17], v[84:85], v[0:1], v[16:17]
	v_mul_f64_e32 v[0:1], v[86:87], v[0:1]
	v_fma_f64 v[18:19], v[84:85], v[2:3], -v[0:1]
	scratch_load_b128 v[84:87], off, off offset:1312 th:TH_LOAD_LU ; 16-byte Folded Reload
	ds_load_b128 v[0:3], v20 offset:55680
	s_wait_loadcnt_dscnt 0x0
	v_mul_f64_e32 v[21:22], v[86:87], v[2:3]
	s_delay_alu instid0(VALU_DEP_1) | instskip(SKIP_2) | instid1(VALU_DEP_2)
	v_fma_f64 v[22:23], v[84:85], v[0:1], v[21:22]
	v_mul_f64_e32 v[0:1], v[86:87], v[0:1]
	v_add_f64_e32 v[86:87], v[98:99], v[106:107]
	v_fma_f64 v[84:85], v[84:85], v[2:3], -v[0:1]
	ds_load_b128 v[0:3], v20
	s_wait_dscnt 0x0
	v_fma_f64 v[114:115], v[86:87], -0.5, v[0:1]
	v_add_f64_e32 v[86:87], v[100:101], v[108:109]
	v_add_f64_e32 v[0:1], v[0:1], v[98:99]
	s_delay_alu instid0(VALU_DEP_2) | instskip(SKIP_2) | instid1(VALU_DEP_4)
	v_fma_f64 v[116:117], v[86:87], -0.5, v[2:3]
	v_add_f64_e32 v[86:87], v[94:95], v[102:103]
	v_add_f64_e32 v[2:3], v[2:3], v[100:101]
	;; [unrolled: 1-line block ×3, first 2 shown]
	v_add_f64_e64 v[106:107], v[98:99], -v[106:107]
	s_delay_alu instid0(VALU_DEP_4) | instskip(SKIP_3) | instid1(VALU_DEP_3)
	v_add_f64_e32 v[90:91], v[86:87], v[110:111]
	v_add_f64_e32 v[86:87], v[96:97], v[104:105]
	;; [unrolled: 1-line block ×3, first 2 shown]
	v_add_f64_e64 v[108:109], v[100:101], -v[108:109]
	v_add_f64_e32 v[92:93], v[86:87], v[112:113]
	v_add_f64_e32 v[86:87], v[0:1], v[90:91]
	v_add_f64_e64 v[90:91], v[0:1], -v[90:91]
	v_add_f64_e32 v[0:1], v[102:103], v[110:111]
	s_delay_alu instid0(VALU_DEP_4)
	v_add_f64_e32 v[88:89], v[2:3], v[92:93]
	v_add_f64_e64 v[92:93], v[2:3], -v[92:93]
	v_add_f64_e64 v[2:3], v[102:103], -v[110:111]
	v_add_f64_e32 v[102:103], v[104:105], v[112:113]
	v_add_f64_e64 v[104:105], v[104:105], -v[112:113]
	v_fma_f64 v[0:1], v[0:1], -0.5, v[94:95]
	v_fma_f64 v[112:113], v[106:107], s[26:27], v[116:117]
	s_delay_alu instid0(VALU_DEP_4) | instskip(NEXT) | instid1(VALU_DEP_3)
	v_fma_f64 v[102:103], v[102:103], -0.5, v[96:97]
	v_fma_f64 v[98:99], v[104:105], s[28:29], v[0:1]
	v_fma_f64 v[0:1], v[104:105], s[26:27], v[0:1]
	s_delay_alu instid0(VALU_DEP_3) | instskip(SKIP_1) | instid1(VALU_DEP_2)
	v_fma_f64 v[94:95], v[2:3], s[26:27], v[102:103]
	v_fma_f64 v[2:3], v[2:3], s[28:29], v[102:103]
	v_mul_f64_e32 v[96:97], s[28:29], v[94:95]
	v_mul_f64_e32 v[94:95], 0.5, v[94:95]
	s_delay_alu instid0(VALU_DEP_3) | instskip(SKIP_1) | instid1(VALU_DEP_4)
	v_mul_f64_e32 v[102:103], s[28:29], v[2:3]
	v_mul_f64_e32 v[2:3], -0.5, v[2:3]
	v_fma_f64 v[100:101], v[98:99], 0.5, v[96:97]
	s_delay_alu instid0(VALU_DEP_4) | instskip(SKIP_2) | instid1(VALU_DEP_3)
	v_fma_f64 v[110:111], v[98:99], s[26:27], v[94:95]
	v_fma_f64 v[98:99], v[108:109], s[28:29], v[114:115]
	;; [unrolled: 1-line block ×3, first 2 shown]
	v_add_f64_e32 v[96:97], v[112:113], v[110:111]
	s_delay_alu instid0(VALU_DEP_3)
	v_add_f64_e32 v[94:95], v[98:99], v[100:101]
	v_add_f64_e64 v[98:99], v[98:99], -v[100:101]
	v_add_f64_e64 v[100:101], v[112:113], -v[110:111]
	v_fma_f64 v[110:111], v[106:107], s[28:29], v[116:117]
	v_fma_f64 v[106:107], v[0:1], -0.5, v[102:103]
	v_fma_f64 v[0:1], v[0:1], s[26:27], v[2:3]
	s_delay_alu instid0(VALU_DEP_2) | instskip(NEXT) | instid1(VALU_DEP_2)
	v_add_f64_e32 v[102:103], v[108:109], v[106:107]
	v_add_f64_e32 v[104:105], v[110:111], v[0:1]
	v_add_f64_e64 v[106:107], v[108:109], -v[106:107]
	v_add_f64_e64 v[108:109], v[110:111], -v[0:1]
	ds_load_b128 v[0:3], v20 offset:7680
	ds_load_b128 v[110:113], v20 offset:1920
	;; [unrolled: 1-line block ×4, first 2 shown]
	global_wb scope:SCOPE_SE
	s_wait_dscnt 0x0
	s_barrier_signal -1
	s_barrier_wait -1
	global_inv scope:SCOPE_SE
	scratch_load_b32 v21, off, off offset:1408 th:TH_LOAD_LU ; 4-byte Folded Reload
	s_wait_loadcnt 0x0
	ds_store_b128 v21, v[86:89]
	ds_store_b128 v21, v[90:93] offset:4800
	ds_store_b128 v21, v[94:97] offset:1600
	ds_store_b128 v21, v[102:105] offset:3200
	ds_store_b128 v21, v[98:101] offset:6400
	ds_store_b128 v21, v[106:109] offset:8000
	v_add_f64_e32 v[86:87], v[68:69], v[76:77]
	scratch_load_b32 v21, off, off offset:1404 th:TH_LOAD_LU ; 4-byte Folded Reload
	v_add_f64_e32 v[88:89], v[112:113], v[70:71]
	v_fma_f64 v[94:95], v[86:87], -0.5, v[110:111]
	v_add_f64_e32 v[86:87], v[70:71], v[78:79]
	s_delay_alu instid0(VALU_DEP_3) | instskip(SKIP_1) | instid1(VALU_DEP_3)
	v_add_f64_e32 v[92:93], v[88:89], v[78:79]
	v_add_f64_e64 v[78:79], v[70:71], -v[78:79]
	v_fma_f64 v[96:97], v[86:87], -0.5, v[112:113]
	v_add_f64_e32 v[86:87], v[110:111], v[68:69]
	s_delay_alu instid0(VALU_DEP_1) | instskip(SKIP_2) | instid1(VALU_DEP_2)
	v_add_f64_e32 v[90:91], v[86:87], v[76:77]
	v_add_f64_e32 v[86:87], v[64:65], v[74:75]
	v_add_f64_e64 v[76:77], v[68:69], -v[76:77]
	v_add_f64_e32 v[98:99], v[86:87], v[82:83]
	v_add_f64_e32 v[86:87], v[66:67], v[72:73]
	s_delay_alu instid0(VALU_DEP_1) | instskip(NEXT) | instid1(VALU_DEP_3)
	v_add_f64_e32 v[100:101], v[86:87], v[80:81]
	v_add_f64_e32 v[86:87], v[90:91], v[98:99]
	v_add_f64_e64 v[90:91], v[90:91], -v[98:99]
	v_add_f64_e32 v[98:99], v[74:75], v[82:83]
	v_add_f64_e64 v[74:75], v[74:75], -v[82:83]
	v_add_f64_e32 v[82:83], v[72:73], v[80:81]
	v_add_f64_e64 v[72:73], v[72:73], -v[80:81]
	v_add_f64_e32 v[88:89], v[92:93], v[100:101]
	v_add_f64_e64 v[92:93], v[92:93], -v[100:101]
	v_fma_f64 v[100:101], v[76:77], s[26:27], v[96:97]
	v_fma_f64 v[80:81], v[98:99], -0.5, v[64:65]
	v_fma_f64 v[82:83], v[82:83], -0.5, v[66:67]
	s_delay_alu instid0(VALU_DEP_2) | instskip(SKIP_1) | instid1(VALU_DEP_3)
	v_fma_f64 v[68:69], v[72:73], s[28:29], v[80:81]
	v_fma_f64 v[72:73], v[72:73], s[26:27], v[80:81]
	v_fma_f64 v[64:65], v[74:75], s[26:27], v[82:83]
	v_fma_f64 v[74:75], v[74:75], s[28:29], v[82:83]
	v_fma_f64 v[82:83], v[76:77], s[28:29], v[96:97]
	s_delay_alu instid0(VALU_DEP_3) | instskip(SKIP_1) | instid1(VALU_DEP_4)
	v_mul_f64_e32 v[66:67], s[28:29], v[64:65]
	v_mul_f64_e32 v[64:65], 0.5, v[64:65]
	v_mul_f64_e32 v[76:77], s[28:29], v[74:75]
	v_mul_f64_e32 v[74:75], -0.5, v[74:75]
	s_delay_alu instid0(VALU_DEP_4) | instskip(NEXT) | instid1(VALU_DEP_4)
	v_fma_f64 v[70:71], v[68:69], 0.5, v[66:67]
	v_fma_f64 v[98:99], v[68:69], s[26:27], v[64:65]
	v_fma_f64 v[68:69], v[78:79], s[28:29], v[94:95]
	v_fma_f64 v[78:79], v[78:79], s[26:27], v[94:95]
	v_fma_f64 v[76:77], v[72:73], -0.5, v[76:77]
	v_fma_f64 v[80:81], v[72:73], s[26:27], v[74:75]
	v_add_f64_e32 v[66:67], v[100:101], v[98:99]
	v_add_f64_e32 v[64:65], v[68:69], v[70:71]
	v_add_f64_e64 v[68:69], v[68:69], -v[70:71]
	v_add_f64_e32 v[72:73], v[78:79], v[76:77]
	v_add_f64_e32 v[74:75], v[82:83], v[80:81]
	v_add_f64_e64 v[70:71], v[100:101], -v[98:99]
	v_add_f64_e64 v[76:77], v[78:79], -v[76:77]
	v_add_f64_e64 v[78:79], v[82:83], -v[80:81]
	s_wait_loadcnt 0x0
	ds_store_b128 v21, v[86:89]
	ds_store_b128 v21, v[64:67] offset:1600
	ds_store_b128 v21, v[72:75] offset:3200
	ds_store_b128 v21, v[90:93] offset:4800
	ds_store_b128 v21, v[68:71] offset:6400
	ds_store_b128 v21, v[76:79] offset:8000
	v_add_f64_e32 v[64:65], v[48:49], v[56:57]
	scratch_load_b32 v21, off, off offset:1400 th:TH_LOAD_LU ; 4-byte Folded Reload
	v_add_f64_e32 v[66:67], v[116:117], v[50:51]
	v_fma_f64 v[72:73], v[64:65], -0.5, v[114:115]
	v_add_f64_e32 v[64:65], v[50:51], v[58:59]
	s_delay_alu instid0(VALU_DEP_3) | instskip(SKIP_1) | instid1(VALU_DEP_3)
	v_add_f64_e32 v[70:71], v[66:67], v[58:59]
	v_add_f64_e64 v[58:59], v[50:51], -v[58:59]
	v_fma_f64 v[74:75], v[64:65], -0.5, v[116:117]
	v_add_f64_e32 v[64:65], v[114:115], v[48:49]
	s_delay_alu instid0(VALU_DEP_1) | instskip(SKIP_2) | instid1(VALU_DEP_2)
	v_add_f64_e32 v[68:69], v[64:65], v[56:57]
	v_add_f64_e32 v[64:65], v[44:45], v[54:55]
	v_add_f64_e64 v[56:57], v[48:49], -v[56:57]
	v_add_f64_e32 v[76:77], v[64:65], v[62:63]
	v_add_f64_e32 v[64:65], v[46:47], v[52:53]
	s_delay_alu instid0(VALU_DEP_1) | instskip(NEXT) | instid1(VALU_DEP_3)
	v_add_f64_e32 v[78:79], v[64:65], v[60:61]
	v_add_f64_e32 v[64:65], v[68:69], v[76:77]
	v_add_f64_e64 v[68:69], v[68:69], -v[76:77]
	v_add_f64_e32 v[76:77], v[54:55], v[62:63]
	v_add_f64_e64 v[54:55], v[54:55], -v[62:63]
	v_add_f64_e32 v[62:63], v[52:53], v[60:61]
	v_add_f64_e64 v[52:53], v[52:53], -v[60:61]
	v_add_f64_e32 v[66:67], v[70:71], v[78:79]
	v_add_f64_e64 v[70:71], v[70:71], -v[78:79]
	v_fma_f64 v[78:79], v[56:57], s[26:27], v[74:75]
	v_fma_f64 v[60:61], v[76:77], -0.5, v[44:45]
	v_fma_f64 v[62:63], v[62:63], -0.5, v[46:47]
	s_delay_alu instid0(VALU_DEP_2) | instskip(SKIP_1) | instid1(VALU_DEP_3)
	v_fma_f64 v[48:49], v[52:53], s[28:29], v[60:61]
	v_fma_f64 v[52:53], v[52:53], s[26:27], v[60:61]
	v_fma_f64 v[44:45], v[54:55], s[26:27], v[62:63]
	v_fma_f64 v[54:55], v[54:55], s[28:29], v[62:63]
	v_fma_f64 v[62:63], v[56:57], s[28:29], v[74:75]
	s_delay_alu instid0(VALU_DEP_3) | instskip(SKIP_1) | instid1(VALU_DEP_4)
	v_mul_f64_e32 v[46:47], s[28:29], v[44:45]
	v_mul_f64_e32 v[44:45], 0.5, v[44:45]
	v_mul_f64_e32 v[56:57], s[28:29], v[54:55]
	v_mul_f64_e32 v[54:55], -0.5, v[54:55]
	s_delay_alu instid0(VALU_DEP_4) | instskip(NEXT) | instid1(VALU_DEP_4)
	v_fma_f64 v[50:51], v[48:49], 0.5, v[46:47]
	v_fma_f64 v[76:77], v[48:49], s[26:27], v[44:45]
	v_fma_f64 v[48:49], v[58:59], s[28:29], v[72:73]
	v_fma_f64 v[58:59], v[58:59], s[26:27], v[72:73]
	v_fma_f64 v[56:57], v[52:53], -0.5, v[56:57]
	v_fma_f64 v[60:61], v[52:53], s[26:27], v[54:55]
	v_add_f64_e32 v[46:47], v[78:79], v[76:77]
	v_add_f64_e32 v[44:45], v[48:49], v[50:51]
	v_add_f64_e64 v[48:49], v[48:49], -v[50:51]
	v_add_f64_e32 v[52:53], v[58:59], v[56:57]
	v_add_f64_e32 v[54:55], v[62:63], v[60:61]
	v_add_f64_e64 v[50:51], v[78:79], -v[76:77]
	v_add_f64_e64 v[56:57], v[58:59], -v[56:57]
	v_add_f64_e64 v[58:59], v[62:63], -v[60:61]
	;; [unrolled: 62-line block ×3, first 2 shown]
	s_wait_loadcnt 0x0
	ds_store_b128 v21, v[44:47]
	ds_store_b128 v21, v[24:27] offset:1600
	ds_store_b128 v21, v[32:35] offset:3200
	;; [unrolled: 1-line block ×5, first 2 shown]
	v_add_f64_e32 v[24:25], v[8:9], v[16:17]
	s_delay_alu instid0(VALU_DEP_1) | instskip(SKIP_2) | instid1(VALU_DEP_2)
	v_fma_f64 v[28:29], v[24:25], -0.5, v[0:1]
	v_add_f64_e32 v[24:25], v[10:11], v[18:19]
	v_add_f64_e32 v[0:1], v[0:1], v[8:9]
	v_fma_f64 v[30:31], v[24:25], -0.5, v[2:3]
	s_delay_alu instid0(VALU_DEP_2) | instskip(SKIP_3) | instid1(VALU_DEP_3)
	v_add_f64_e32 v[24:25], v[0:1], v[16:17]
	v_add_f64_e32 v[0:1], v[4:5], v[14:15]
	;; [unrolled: 1-line block ×3, first 2 shown]
	v_add_f64_e64 v[16:17], v[8:9], -v[16:17]
	v_add_f64_e32 v[32:33], v[0:1], v[22:23]
	v_add_f64_e32 v[0:1], v[6:7], v[12:13]
	s_delay_alu instid0(VALU_DEP_4) | instskip(SKIP_2) | instid1(VALU_DEP_4)
	v_add_f64_e32 v[26:27], v[2:3], v[18:19]
	v_add_f64_e64 v[18:19], v[10:11], -v[18:19]
	v_fma_f64 v[36:37], v[16:17], s[26:27], v[30:31]
	v_add_f64_e32 v[34:35], v[0:1], v[84:85]
	v_add_f64_e32 v[0:1], v[24:25], v[32:33]
	v_add_f64_e64 v[24:25], v[24:25], -v[32:33]
	v_add_f64_e32 v[32:33], v[14:15], v[22:23]
	v_add_f64_e64 v[14:15], v[14:15], -v[22:23]
	;; [unrolled: 2-line block ×4, first 2 shown]
	v_fma_f64 v[32:33], v[32:33], -0.5, v[4:5]
	v_fma_f64 v[21:22], v[21:22], -0.5, v[6:7]
	s_delay_alu instid0(VALU_DEP_2) | instskip(SKIP_1) | instid1(VALU_DEP_3)
	v_fma_f64 v[8:9], v[12:13], s[28:29], v[32:33]
	v_fma_f64 v[12:13], v[12:13], s[26:27], v[32:33]
	v_fma_f64 v[4:5], v[14:15], s[26:27], v[21:22]
	v_fma_f64 v[14:15], v[14:15], s[28:29], v[21:22]
	v_fma_f64 v[21:22], v[16:17], s[28:29], v[30:31]
	s_delay_alu instid0(VALU_DEP_3) | instskip(SKIP_1) | instid1(VALU_DEP_4)
	v_mul_f64_e32 v[6:7], s[28:29], v[4:5]
	v_mul_f64_e32 v[4:5], 0.5, v[4:5]
	v_mul_f64_e32 v[16:17], s[28:29], v[14:15]
	v_mul_f64_e32 v[14:15], -0.5, v[14:15]
	s_delay_alu instid0(VALU_DEP_4) | instskip(NEXT) | instid1(VALU_DEP_4)
	v_fma_f64 v[10:11], v[8:9], 0.5, v[6:7]
	v_fma_f64 v[34:35], v[8:9], s[26:27], v[4:5]
	v_fma_f64 v[8:9], v[18:19], s[28:29], v[28:29]
	;; [unrolled: 1-line block ×3, first 2 shown]
	v_fma_f64 v[16:17], v[12:13], -0.5, v[16:17]
	v_fma_f64 v[28:29], v[12:13], s[26:27], v[14:15]
	v_add_f64_e32 v[6:7], v[36:37], v[34:35]
	v_add_f64_e32 v[4:5], v[8:9], v[10:11]
	v_add_f64_e64 v[8:9], v[8:9], -v[10:11]
	v_add_f64_e32 v[12:13], v[18:19], v[16:17]
	v_add_f64_e32 v[14:15], v[21:22], v[28:29]
	v_add_f64_e64 v[16:17], v[18:19], -v[16:17]
	v_add_f64_e64 v[18:19], v[21:22], -v[28:29]
	scratch_load_b32 v21, off, off offset:1328 th:TH_LOAD_LU ; 4-byte Folded Reload
	v_add_f64_e64 v[10:11], v[36:37], -v[34:35]
	s_wait_loadcnt 0x0
	ds_store_b128 v21, v[0:3]
	ds_store_b128 v21, v[4:7] offset:1600
	ds_store_b128 v21, v[12:15] offset:3200
	;; [unrolled: 1-line block ×5, first 2 shown]
	global_wb scope:SCOPE_SE
	s_wait_dscnt 0x0
	s_barrier_signal -1
	s_barrier_wait -1
	global_inv scope:SCOPE_SE
	scratch_load_b128 v[10:13], off, off offset:1364 th:TH_LOAD_LU ; 16-byte Folded Reload
	ds_load_b128 v[0:3], v20 offset:9600
	ds_load_b128 v[46:49], v20 offset:24960
	;; [unrolled: 1-line block ×4, first 2 shown]
	s_wait_loadcnt_dscnt 0x3
	v_mul_f64_e32 v[4:5], v[12:13], v[2:3]
	s_delay_alu instid0(VALU_DEP_1) | instskip(SKIP_1) | instid1(VALU_DEP_1)
	v_fma_f64 v[8:9], v[10:11], v[0:1], v[4:5]
	v_mul_f64_e32 v[0:1], v[12:13], v[0:1]
	v_fma_f64 v[24:25], v[10:11], v[2:3], -v[0:1]
	scratch_load_b128 v[10:13], off, off offset:1348 th:TH_LOAD_LU ; 16-byte Folded Reload
	ds_load_b128 v[0:3], v20 offset:19200
	s_wait_dscnt 0x0
	v_mul_f64_e32 v[4:5], v[254:255], v[2:3]
	s_delay_alu instid0(VALU_DEP_1) | instskip(SKIP_1) | instid1(VALU_DEP_1)
	v_fma_f64 v[38:39], v[252:253], v[0:1], v[4:5]
	v_mul_f64_e32 v[0:1], v[254:255], v[0:1]
	v_fma_f64 v[44:45], v[252:253], v[2:3], -v[0:1]
	ds_load_b128 v[0:3], v20 offset:28800
	s_wait_loadcnt_dscnt 0x0
	v_mul_f64_e32 v[4:5], v[12:13], v[2:3]
	s_delay_alu instid0(VALU_DEP_1) | instskip(SKIP_1) | instid1(VALU_DEP_1)
	v_fma_f64 v[72:73], v[10:11], v[0:1], v[4:5]
	v_mul_f64_e32 v[0:1], v[12:13], v[0:1]
	v_fma_f64 v[64:65], v[10:11], v[2:3], -v[0:1]
	scratch_load_b128 v[10:13], off, off offset:1332 th:TH_LOAD_LU ; 16-byte Folded Reload
	ds_load_b128 v[0:3], v20 offset:38400
	s_wait_loadcnt_dscnt 0x0
	v_mul_f64_e32 v[4:5], v[12:13], v[2:3]
	s_delay_alu instid0(VALU_DEP_1) | instskip(SKIP_1) | instid1(VALU_DEP_2)
	v_fma_f64 v[80:81], v[10:11], v[0:1], v[4:5]
	v_mul_f64_e32 v[0:1], v[12:13], v[0:1]
	v_add_f64_e32 v[100:101], v[38:39], v[80:81]
	s_delay_alu instid0(VALU_DEP_2) | instskip(SKIP_4) | instid1(VALU_DEP_1)
	v_fma_f64 v[84:85], v[10:11], v[2:3], -v[0:1]
	scratch_load_b128 v[10:13], off, off offset:1380 th:TH_LOAD_LU ; 16-byte Folded Reload
	ds_load_b128 v[0:3], v20 offset:48000
	s_wait_loadcnt_dscnt 0x0
	v_mul_f64_e32 v[4:5], v[12:13], v[2:3]
	v_fma_f64 v[170:171], v[10:11], v[0:1], v[4:5]
	v_mul_f64_e32 v[0:1], v[12:13], v[0:1]
	s_delay_alu instid0(VALU_DEP_1) | instskip(SKIP_4) | instid1(VALU_DEP_1)
	v_fma_f64 v[168:169], v[10:11], v[2:3], -v[0:1]
	ds_load_b128 v[0:3], v20 offset:11520
	ds_load_b128 v[10:13], v20 offset:15360
	s_wait_dscnt 0x1
	v_mul_f64_e32 v[4:5], v[250:251], v[2:3]
	v_fma_f64 v[18:19], v[248:249], v[0:1], v[4:5]
	v_mul_f64_e32 v[0:1], v[250:251], v[0:1]
	s_delay_alu instid0(VALU_DEP_1) | instskip(SKIP_3) | instid1(VALU_DEP_1)
	v_fma_f64 v[32:33], v[248:249], v[2:3], -v[0:1]
	ds_load_b128 v[0:3], v20 offset:21120
	s_wait_dscnt 0x0
	v_mul_f64_e32 v[4:5], v[242:243], v[2:3]
	v_fma_f64 v[34:35], v[240:241], v[0:1], v[4:5]
	v_mul_f64_e32 v[0:1], v[242:243], v[0:1]
	s_delay_alu instid0(VALU_DEP_1) | instskip(SKIP_3) | instid1(VALU_DEP_1)
	v_fma_f64 v[40:41], v[240:241], v[2:3], -v[0:1]
	;; [unrolled: 7-line block ×3, first 2 shown]
	ds_load_b128 v[0:3], v20 offset:40320
	s_wait_dscnt 0x0
	v_mul_f64_e32 v[4:5], v[238:239], v[2:3]
	v_fma_f64 v[68:69], v[236:237], v[0:1], v[4:5]
	v_mul_f64_e32 v[0:1], v[238:239], v[0:1]
	s_delay_alu instid0(VALU_DEP_2) | instskip(NEXT) | instid1(VALU_DEP_2)
	v_add_f64_e32 v[110:111], v[34:35], v[68:69]
	v_fma_f64 v[74:75], v[236:237], v[2:3], -v[0:1]
	ds_load_b128 v[0:3], v20 offset:49920
	s_wait_dscnt 0x0
	v_mul_f64_e32 v[4:5], v[234:235], v[2:3]
	s_delay_alu instid0(VALU_DEP_1) | instskip(SKIP_1) | instid1(VALU_DEP_1)
	v_fma_f64 v[86:87], v[232:233], v[0:1], v[4:5]
	v_mul_f64_e32 v[0:1], v[234:235], v[0:1]
	v_fma_f64 v[82:83], v[232:233], v[2:3], -v[0:1]
	ds_load_b128 v[0:3], v20 offset:13440
	s_wait_dscnt 0x0
	v_mul_f64_e32 v[4:5], v[230:231], v[2:3]
	s_delay_alu instid0(VALU_DEP_1) | instskip(SKIP_1) | instid1(VALU_DEP_1)
	v_fma_f64 v[6:7], v[228:229], v[0:1], v[4:5]
	v_mul_f64_e32 v[0:1], v[230:231], v[0:1]
	;; [unrolled: 7-line block ×4, first 2 shown]
	v_fma_f64 v[42:43], v[216:217], v[2:3], -v[0:1]
	ds_load_b128 v[0:3], v20 offset:42240
	s_wait_dscnt 0x0
	v_mul_f64_e32 v[4:5], v[222:223], v[2:3]
	s_delay_alu instid0(VALU_DEP_1) | instskip(SKIP_1) | instid1(VALU_DEP_2)
	v_fma_f64 v[58:59], v[220:221], v[0:1], v[4:5]
	v_mul_f64_e32 v[0:1], v[222:223], v[0:1]
	v_add_f64_e32 v[118:119], v[26:27], v[58:59]
	s_delay_alu instid0(VALU_DEP_2) | instskip(SKIP_3) | instid1(VALU_DEP_1)
	v_fma_f64 v[60:61], v[220:221], v[2:3], -v[0:1]
	ds_load_b128 v[0:3], v20 offset:51840
	s_wait_dscnt 0x0
	v_mul_f64_e32 v[4:5], v[214:215], v[2:3]
	v_fma_f64 v[78:79], v[212:213], v[0:1], v[4:5]
	v_mul_f64_e32 v[0:1], v[214:215], v[0:1]
	s_delay_alu instid0(VALU_DEP_1) | instskip(SKIP_1) | instid1(VALU_DEP_1)
	v_fma_f64 v[76:77], v[212:213], v[2:3], -v[0:1]
	v_mul_f64_e32 v[0:1], v[198:199], v[12:13]
	v_fma_f64 v[2:3], v[196:197], v[10:11], v[0:1]
	v_mul_f64_e32 v[0:1], v[198:199], v[10:11]
	s_delay_alu instid0(VALU_DEP_1) | instskip(SKIP_1) | instid1(VALU_DEP_1)
	v_fma_f64 v[10:11], v[196:197], v[12:13], -v[0:1]
	v_mul_f64_e32 v[0:1], v[194:195], v[48:49]
	v_fma_f64 v[14:15], v[192:193], v[46:47], v[0:1]
	v_mul_f64_e32 v[0:1], v[194:195], v[46:47]
	s_delay_alu instid0(VALU_DEP_1) | instskip(SKIP_3) | instid1(VALU_DEP_1)
	v_fma_f64 v[108:109], v[192:193], v[48:49], -v[0:1]
	ds_load_b128 v[46:49], v20 offset:34560
	s_wait_dscnt 0x0
	v_mul_f64_e32 v[0:1], v[190:191], v[48:49]
	v_fma_f64 v[36:37], v[188:189], v[46:47], v[0:1]
	v_mul_f64_e32 v[0:1], v[190:191], v[46:47]
	s_delay_alu instid0(VALU_DEP_1) | instskip(SKIP_3) | instid1(VALU_DEP_1)
	v_fma_f64 v[30:31], v[188:189], v[48:49], -v[0:1]
	ds_load_b128 v[48:51], v20 offset:44160
	s_wait_dscnt 0x0
	v_mul_f64_e32 v[0:1], v[186:187], v[50:51]
	v_fma_f64 v[46:47], v[184:185], v[48:49], v[0:1]
	v_mul_f64_e32 v[0:1], v[186:187], v[48:49]
	s_delay_alu instid0(VALU_DEP_2) | instskip(NEXT) | instid1(VALU_DEP_2)
	v_add_f64_e32 v[126:127], v[14:15], v[46:47]
	v_fma_f64 v[48:49], v[184:185], v[50:51], -v[0:1]
	v_mul_f64_e32 v[0:1], v[182:183], v[90:91]
	s_delay_alu instid0(VALU_DEP_1) | instskip(SKIP_1) | instid1(VALU_DEP_1)
	v_fma_f64 v[70:71], v[180:181], v[88:89], v[0:1]
	v_mul_f64_e32 v[0:1], v[182:183], v[88:89]
	v_fma_f64 v[62:63], v[180:181], v[90:91], -v[0:1]
	ds_load_b128 v[88:91], v20 offset:17280
	s_wait_dscnt 0x0
	v_mul_f64_e32 v[0:1], v[174:175], v[90:91]
	v_mul_f64_e32 v[4:5], v[174:175], v[88:89]
	s_delay_alu instid0(VALU_DEP_2) | instskip(NEXT) | instid1(VALU_DEP_2)
	v_fma_f64 v[0:1], v[172:173], v[88:89], v[0:1]
	v_fma_f64 v[4:5], v[172:173], v[90:91], -v[4:5]
	ds_load_b128 v[88:91], v20 offset:26880
	s_wait_dscnt 0x0
	v_mul_f64_e32 v[12:13], v[160:161], v[90:91]
	v_mul_f64_e32 v[16:17], v[160:161], v[88:89]
	s_delay_alu instid0(VALU_DEP_2) | instskip(NEXT) | instid1(VALU_DEP_2)
	v_fma_f64 v[12:13], v[158:159], v[88:89], v[12:13]
	v_fma_f64 v[16:17], v[158:159], v[90:91], -v[16:17]
	ds_load_b128 v[88:91], v20 offset:36480
	s_wait_dscnt 0x0
	v_mul_f64_e32 v[50:51], v[164:165], v[90:91]
	s_delay_alu instid0(VALU_DEP_1) | instskip(SKIP_1) | instid1(VALU_DEP_1)
	v_fma_f64 v[56:57], v[162:163], v[88:89], v[50:51]
	v_mul_f64_e32 v[50:51], v[164:165], v[88:89]
	v_fma_f64 v[50:51], v[162:163], v[90:91], -v[50:51]
	ds_load_b128 v[90:93], v20 offset:46080
	s_wait_dscnt 0x0
	v_mul_f64_e32 v[88:89], v[178:179], v[92:93]
	s_delay_alu instid0(VALU_DEP_1) | instskip(SKIP_1) | instid1(VALU_DEP_2)
	v_fma_f64 v[88:89], v[176:177], v[90:91], v[88:89]
	v_mul_f64_e32 v[90:91], v[178:179], v[90:91]
	v_add_f64_e32 v[134:135], v[12:13], v[88:89]
	s_delay_alu instid0(VALU_DEP_2) | instskip(SKIP_1) | instid1(VALU_DEP_1)
	v_fma_f64 v[90:91], v[176:177], v[92:93], -v[90:91]
	v_mul_f64_e32 v[92:93], v[202:203], v[98:99]
	v_fma_f64 v[94:95], v[200:201], v[96:97], v[92:93]
	v_mul_f64_e32 v[92:93], v[202:203], v[96:97]
	s_delay_alu instid0(VALU_DEP_1)
	v_fma_f64 v[92:93], v[200:201], v[98:99], -v[92:93]
	ds_load_b128 v[96:99], v20
	s_wait_dscnt 0x0
	v_fma_f64 v[146:147], v[100:101], -0.5, v[96:97]
	v_add_f64_e32 v[100:101], v[44:45], v[84:85]
	v_add_f64_e32 v[96:97], v[96:97], v[38:39]
	v_add_f64_e64 v[38:39], v[38:39], -v[80:81]
	s_delay_alu instid0(VALU_DEP_3) | instskip(NEXT) | instid1(VALU_DEP_3)
	v_fma_f64 v[148:149], v[100:101], -0.5, v[98:99]
	v_add_f64_e32 v[100:101], v[96:97], v[80:81]
	v_add_f64_e32 v[96:97], v[8:9], v[72:73]
	;; [unrolled: 1-line block ×3, first 2 shown]
	v_add_f64_e64 v[44:45], v[44:45], -v[84:85]
	v_fma_f64 v[144:145], v[38:39], s[26:27], v[148:149]
	v_fma_f64 v[38:39], v[38:39], s[28:29], v[148:149]
	v_add_f64_e32 v[104:105], v[96:97], v[170:171]
	v_add_f64_e32 v[96:97], v[24:25], v[64:65]
	;; [unrolled: 1-line block ×3, first 2 shown]
	v_fma_f64 v[142:143], v[44:45], s[28:29], v[146:147]
	v_fma_f64 v[44:45], v[44:45], s[26:27], v[146:147]
	s_delay_alu instid0(VALU_DEP_4) | instskip(SKIP_2) | instid1(VALU_DEP_3)
	v_add_f64_e32 v[106:107], v[96:97], v[168:169]
	v_add_f64_e32 v[96:97], v[100:101], v[104:105]
	v_add_f64_e64 v[100:101], v[100:101], -v[104:105]
	v_add_f64_e32 v[98:99], v[102:103], v[106:107]
	v_add_f64_e64 v[102:103], v[102:103], -v[106:107]
	ds_load_b128 v[104:107], v20 offset:1920
	s_wait_dscnt 0x0
	v_fma_f64 v[154:155], v[110:111], -0.5, v[104:105]
	v_add_f64_e32 v[110:111], v[40:41], v[74:75]
	v_add_f64_e32 v[104:105], v[104:105], v[34:35]
	s_delay_alu instid0(VALU_DEP_2) | instskip(NEXT) | instid1(VALU_DEP_2)
	v_fma_f64 v[156:157], v[110:111], -0.5, v[106:107]
	v_add_f64_e32 v[110:111], v[104:105], v[68:69]
	v_add_f64_e32 v[104:105], v[18:19], v[66:67]
	;; [unrolled: 1-line block ×3, first 2 shown]
	s_delay_alu instid0(VALU_DEP_2) | instskip(SKIP_1) | instid1(VALU_DEP_3)
	v_add_f64_e32 v[114:115], v[104:105], v[86:87]
	v_add_f64_e32 v[104:105], v[32:33], v[54:55]
	;; [unrolled: 1-line block ×3, first 2 shown]
	s_delay_alu instid0(VALU_DEP_2) | instskip(NEXT) | instid1(VALU_DEP_4)
	v_add_f64_e32 v[116:117], v[104:105], v[82:83]
	v_add_f64_e32 v[104:105], v[110:111], v[114:115]
	v_add_f64_e64 v[110:111], v[110:111], -v[114:115]
	s_delay_alu instid0(VALU_DEP_3)
	v_add_f64_e32 v[106:107], v[112:113], v[116:117]
	v_add_f64_e64 v[112:113], v[112:113], -v[116:117]
	ds_load_b128 v[114:117], v20 offset:3840
	s_wait_dscnt 0x0
	v_fma_f64 v[158:159], v[118:119], -0.5, v[114:115]
	v_add_f64_e32 v[118:119], v[28:29], v[60:61]
	v_add_f64_e32 v[114:115], v[114:115], v[26:27]
	s_delay_alu instid0(VALU_DEP_2) | instskip(NEXT) | instid1(VALU_DEP_2)
	v_fma_f64 v[160:161], v[118:119], -0.5, v[116:117]
	v_add_f64_e32 v[118:119], v[114:115], v[58:59]
	v_add_f64_e32 v[114:115], v[6:7], v[52:53]
	;; [unrolled: 1-line block ×3, first 2 shown]
	s_delay_alu instid0(VALU_DEP_2) | instskip(SKIP_1) | instid1(VALU_DEP_3)
	v_add_f64_e32 v[122:123], v[114:115], v[78:79]
	v_add_f64_e32 v[114:115], v[22:23], v[42:43]
	;; [unrolled: 1-line block ×3, first 2 shown]
	s_delay_alu instid0(VALU_DEP_2) | instskip(NEXT) | instid1(VALU_DEP_4)
	v_add_f64_e32 v[124:125], v[114:115], v[76:77]
	v_add_f64_e32 v[114:115], v[118:119], v[122:123]
	v_add_f64_e64 v[118:119], v[118:119], -v[122:123]
	s_delay_alu instid0(VALU_DEP_3)
	v_add_f64_e32 v[116:117], v[120:121], v[124:125]
	v_add_f64_e64 v[120:121], v[120:121], -v[124:125]
	ds_load_b128 v[122:125], v20 offset:5760
	s_wait_dscnt 0x0
	v_fma_f64 v[162:163], v[126:127], -0.5, v[122:123]
	v_add_f64_e32 v[126:127], v[108:109], v[48:49]
	v_add_f64_e32 v[122:123], v[122:123], v[14:15]
	v_add_f64_e64 v[14:15], v[14:15], -v[46:47]
	s_delay_alu instid0(VALU_DEP_3) | instskip(NEXT) | instid1(VALU_DEP_3)
	v_fma_f64 v[164:165], v[126:127], -0.5, v[124:125]
	v_add_f64_e32 v[126:127], v[122:123], v[46:47]
	v_add_f64_e32 v[122:123], v[2:3], v[36:37]
	;; [unrolled: 1-line block ×3, first 2 shown]
	s_delay_alu instid0(VALU_DEP_2) | instskip(SKIP_1) | instid1(VALU_DEP_3)
	v_add_f64_e32 v[130:131], v[122:123], v[70:71]
	v_add_f64_e32 v[122:123], v[10:11], v[30:31]
	v_add_f64_e32 v[128:129], v[124:125], v[48:49]
	s_delay_alu instid0(VALU_DEP_2) | instskip(NEXT) | instid1(VALU_DEP_4)
	v_add_f64_e32 v[132:133], v[122:123], v[62:63]
	v_add_f64_e32 v[122:123], v[126:127], v[130:131]
	v_add_f64_e64 v[126:127], v[126:127], -v[130:131]
	s_delay_alu instid0(VALU_DEP_3)
	v_add_f64_e32 v[124:125], v[128:129], v[132:133]
	v_add_f64_e64 v[128:129], v[128:129], -v[132:133]
	ds_load_b128 v[130:133], v20 offset:7680
	s_wait_dscnt 0x0
	v_fma_f64 v[166:167], v[134:135], -0.5, v[130:131]
	v_add_f64_e32 v[134:135], v[16:17], v[90:91]
	v_add_f64_e32 v[130:131], v[130:131], v[12:13]
	s_delay_alu instid0(VALU_DEP_2) | instskip(NEXT) | instid1(VALU_DEP_2)
	v_fma_f64 v[172:173], v[134:135], -0.5, v[132:133]
	v_add_f64_e32 v[134:135], v[130:131], v[88:89]
	v_add_f64_e32 v[130:131], v[0:1], v[56:57]
	;; [unrolled: 1-line block ×3, first 2 shown]
	v_add_f64_e64 v[16:17], v[16:17], -v[90:91]
	s_delay_alu instid0(VALU_DEP_3) | instskip(SKIP_1) | instid1(VALU_DEP_4)
	v_add_f64_e32 v[138:139], v[130:131], v[94:95]
	v_add_f64_e32 v[130:131], v[4:5], v[50:51]
	v_add_f64_e32 v[136:137], v[132:133], v[90:91]
	s_delay_alu instid0(VALU_DEP_2) | instskip(NEXT) | instid1(VALU_DEP_4)
	v_add_f64_e32 v[140:141], v[130:131], v[92:93]
	v_add_f64_e32 v[130:131], v[134:135], v[138:139]
	v_add_f64_e64 v[134:135], v[134:135], -v[138:139]
	v_add_f64_e32 v[138:139], v[72:73], v[170:171]
	v_add_f64_e64 v[72:73], v[72:73], -v[170:171]
	;; [unrolled: 2-line block ×4, first 2 shown]
	v_fma_f64 v[8:9], v[138:139], -0.5, v[8:9]
	s_delay_alu instid0(VALU_DEP_3) | instskip(NEXT) | instid1(VALU_DEP_2)
	v_fma_f64 v[24:25], v[140:141], -0.5, v[24:25]
	v_fma_f64 v[138:139], v[64:65], s[28:29], v[8:9]
	v_fma_f64 v[8:9], v[64:65], s[26:27], v[8:9]
	s_delay_alu instid0(VALU_DEP_3) | instskip(SKIP_1) | instid1(VALU_DEP_2)
	v_fma_f64 v[80:81], v[72:73], s[26:27], v[24:25]
	v_fma_f64 v[24:25], v[72:73], s[28:29], v[24:25]
	v_mul_f64_e32 v[84:85], s[28:29], v[80:81]
	s_delay_alu instid0(VALU_DEP_2) | instskip(SKIP_2) | instid1(VALU_DEP_4)
	v_mul_f64_e32 v[64:65], s[28:29], v[24:25]
	v_mul_f64_e32 v[24:25], -0.5, v[24:25]
	v_mul_f64_e32 v[80:81], 0.5, v[80:81]
	v_fma_f64 v[84:85], v[138:139], 0.5, v[84:85]
	s_delay_alu instid0(VALU_DEP_4) | instskip(NEXT) | instid1(VALU_DEP_4)
	v_fma_f64 v[64:65], v[8:9], -0.5, v[64:65]
	v_fma_f64 v[8:9], v[8:9], s[26:27], v[24:25]
	v_add_f64_e64 v[24:25], v[66:67], -v[86:87]
	v_fma_f64 v[80:81], v[138:139], s[26:27], v[80:81]
	v_add_f64_e32 v[138:139], v[142:143], v[84:85]
	v_add_f64_e32 v[146:147], v[44:45], v[64:65]
	;; [unrolled: 1-line block ×3, first 2 shown]
	v_add_f64_e64 v[152:153], v[38:39], -v[8:9]
	v_add_f64_e32 v[38:39], v[54:55], v[82:83]
	v_add_f64_e64 v[150:151], v[44:45], -v[64:65]
	v_add_f64_e32 v[8:9], v[66:67], v[86:87]
	v_add_f64_e64 v[54:55], v[54:55], -v[82:83]
	v_add_f64_e64 v[64:65], v[34:35], -v[68:69]
	;; [unrolled: 1-line block ×3, first 2 shown]
	v_add_f64_e32 v[140:141], v[144:145], v[80:81]
	v_add_f64_e64 v[142:143], v[142:143], -v[84:85]
	v_add_f64_e64 v[144:145], v[144:145], -v[80:81]
	v_fma_f64 v[44:45], v[38:39], -0.5, v[32:33]
	v_fma_f64 v[8:9], v[8:9], -0.5, v[18:19]
	v_fma_f64 v[68:69], v[64:65], s[26:27], v[156:157]
	v_fma_f64 v[40:41], v[66:67], s[28:29], v[154:155]
	s_delay_alu instid0(VALU_DEP_4) | instskip(NEXT) | instid1(VALU_DEP_4)
	v_fma_f64 v[18:19], v[24:25], s[26:27], v[44:45]
	v_fma_f64 v[34:35], v[54:55], s[28:29], v[8:9]
	;; [unrolled: 1-line block ×3, first 2 shown]
	s_delay_alu instid0(VALU_DEP_3) | instskip(SKIP_1) | instid1(VALU_DEP_2)
	v_mul_f64_e32 v[32:33], s[28:29], v[18:19]
	v_mul_f64_e32 v[18:19], 0.5, v[18:19]
	v_fma_f64 v[38:39], v[34:35], 0.5, v[32:33]
	s_delay_alu instid0(VALU_DEP_2) | instskip(NEXT) | instid1(VALU_DEP_2)
	v_fma_f64 v[18:19], v[34:35], s[26:27], v[18:19]
	v_add_f64_e32 v[32:33], v[40:41], v[38:39]
	s_delay_alu instid0(VALU_DEP_2)
	v_add_f64_e32 v[34:35], v[68:69], v[18:19]
	v_add_f64_e64 v[38:39], v[40:41], -v[38:39]
	v_add_f64_e64 v[40:41], v[68:69], -v[18:19]
	v_fma_f64 v[18:19], v[24:25], s[28:29], v[44:45]
	v_fma_f64 v[24:25], v[66:67], s[26:27], v[154:155]
	;; [unrolled: 1-line block ×3, first 2 shown]
	s_delay_alu instid0(VALU_DEP_3) | instskip(SKIP_1) | instid1(VALU_DEP_2)
	v_mul_f64_e32 v[54:55], s[28:29], v[18:19]
	v_mul_f64_e32 v[18:19], -0.5, v[18:19]
	v_fma_f64 v[54:55], v[8:9], -0.5, v[54:55]
	s_delay_alu instid0(VALU_DEP_2) | instskip(SKIP_1) | instid1(VALU_DEP_3)
	v_fma_f64 v[8:9], v[8:9], s[26:27], v[18:19]
	v_add_f64_e64 v[18:19], v[52:53], -v[78:79]
	v_add_f64_e32 v[64:65], v[24:25], v[54:55]
	v_add_f64_e64 v[72:73], v[24:25], -v[54:55]
	v_add_f64_e32 v[24:25], v[42:43], v[76:77]
	v_add_f64_e32 v[66:67], v[44:45], v[8:9]
	v_add_f64_e64 v[74:75], v[44:45], -v[8:9]
	v_add_f64_e32 v[8:9], v[52:53], v[78:79]
	v_add_f64_e64 v[42:43], v[42:43], -v[76:77]
	v_fma_f64 v[44:45], v[24:25], -0.5, v[22:23]
	v_add_f64_e64 v[25:26], v[26:27], -v[58:59]
	v_add_f64_e64 v[27:28], v[28:29], -v[60:61]
	v_fma_f64 v[52:53], v[8:9], -0.5, v[6:7]
	v_fma_f64 v[60:61], v[14:15], s[26:27], v[164:165]
	v_fma_f64 v[14:15], v[14:15], s[28:29], v[164:165]
	;; [unrolled: 1-line block ×7, first 2 shown]
	v_mul_f64_e32 v[8:9], s[28:29], v[6:7]
	v_mul_f64_e32 v[6:7], 0.5, v[6:7]
	s_delay_alu instid0(VALU_DEP_2) | instskip(NEXT) | instid1(VALU_DEP_2)
	v_fma_f64 v[23:24], v[21:22], 0.5, v[8:9]
	v_fma_f64 v[54:55], v[21:22], s[26:27], v[6:7]
	v_fma_f64 v[21:22], v[27:28], s[28:29], v[158:159]
	v_mul_f64_e32 v[27:28], s[28:29], v[18:19]
	v_mul_f64_e32 v[18:19], -0.5, v[18:19]
	s_delay_alu instid0(VALU_DEP_4) | instskip(NEXT) | instid1(VALU_DEP_4)
	v_add_f64_e32 v[8:9], v[58:59], v[54:55]
	v_add_f64_e32 v[6:7], v[21:22], v[23:24]
	v_add_f64_e64 v[21:22], v[21:22], -v[23:24]
	v_add_f64_e64 v[23:24], v[58:59], -v[54:55]
	v_fma_f64 v[54:55], v[25:26], s[28:29], v[160:161]
	v_fma_f64 v[25:26], v[42:43], s[26:27], v[52:53]
	v_add_f64_e32 v[52:53], v[30:31], v[62:63]
	v_add_f64_e64 v[29:30], v[30:31], -v[62:63]
	v_add_f64_e64 v[58:59], v[108:109], -v[48:49]
	s_delay_alu instid0(VALU_DEP_4) | instskip(SKIP_2) | instid1(VALU_DEP_3)
	v_fma_f64 v[42:43], v[25:26], -0.5, v[27:28]
	v_fma_f64 v[18:19], v[25:26], s[26:27], v[18:19]
	v_fma_f64 v[10:11], v[52:53], -0.5, v[10:11]
	v_add_f64_e32 v[25:26], v[44:45], v[42:43]
	s_delay_alu instid0(VALU_DEP_3)
	v_add_f64_e32 v[27:28], v[54:55], v[18:19]
	v_add_f64_e64 v[42:43], v[44:45], -v[42:43]
	v_add_f64_e64 v[44:45], v[54:55], -v[18:19]
	v_add_f64_e32 v[18:19], v[36:37], v[70:71]
	v_add_f64_e64 v[36:37], v[36:37], -v[70:71]
	v_fma_f64 v[54:55], v[58:59], s[28:29], v[162:163]
	s_delay_alu instid0(VALU_DEP_3) | instskip(NEXT) | instid1(VALU_DEP_3)
	v_fma_f64 v[2:3], v[18:19], -0.5, v[2:3]
	v_fma_f64 v[18:19], v[36:37], s[26:27], v[10:11]
	v_fma_f64 v[10:11], v[36:37], s[28:29], v[10:11]
	s_delay_alu instid0(VALU_DEP_3) | instskip(NEXT) | instid1(VALU_DEP_3)
	v_fma_f64 v[48:49], v[29:30], s[28:29], v[2:3]
	v_mul_f64_e32 v[46:47], s[28:29], v[18:19]
	v_mul_f64_e32 v[18:19], 0.5, v[18:19]
	v_fma_f64 v[2:3], v[29:30], s[26:27], v[2:3]
	v_mul_f64_e32 v[29:30], s[28:29], v[10:11]
	v_mul_f64_e32 v[10:11], -0.5, v[10:11]
	v_fma_f64 v[52:53], v[48:49], 0.5, v[46:47]
	v_fma_f64 v[18:19], v[48:49], s[26:27], v[18:19]
	s_delay_alu instid0(VALU_DEP_4) | instskip(NEXT) | instid1(VALU_DEP_4)
	v_fma_f64 v[29:30], v[2:3], -0.5, v[29:30]
	v_fma_f64 v[2:3], v[2:3], s[26:27], v[10:11]
	v_add_f64_e32 v[10:11], v[50:51], v[92:93]
	v_add_f64_e32 v[46:47], v[54:55], v[52:53]
	;; [unrolled: 1-line block ×3, first 2 shown]
	v_add_f64_e64 v[52:53], v[54:55], -v[52:53]
	v_add_f64_e64 v[54:55], v[60:61], -v[18:19]
	v_fma_f64 v[18:19], v[58:59], s[26:27], v[162:163]
	v_add_f64_e32 v[60:61], v[14:15], v[2:3]
	v_add_f64_e64 v[70:71], v[14:15], -v[2:3]
	v_add_f64_e32 v[2:3], v[56:57], v[94:95]
	v_add_f64_e64 v[14:15], v[56:57], -v[94:95]
	v_fma_f64 v[4:5], v[10:11], -0.5, v[4:5]
	v_add_f64_e32 v[58:59], v[18:19], v[29:30]
	v_add_f64_e64 v[68:69], v[18:19], -v[29:30]
	v_add_f64_e64 v[29:30], v[50:51], -v[92:93]
	v_fma_f64 v[36:37], v[2:3], -0.5, v[0:1]
	v_add_f64_e64 v[18:19], v[12:13], -v[88:89]
	v_fma_f64 v[0:1], v[14:15], s[26:27], v[4:5]
	v_fma_f64 v[4:5], v[14:15], s[28:29], v[4:5]
	s_delay_alu instid0(VALU_DEP_4) | instskip(NEXT) | instid1(VALU_DEP_4)
	v_fma_f64 v[10:11], v[29:30], s[28:29], v[36:37]
	v_fma_f64 v[56:57], v[18:19], s[26:27], v[172:173]
	s_delay_alu instid0(VALU_DEP_4) | instskip(SKIP_3) | instid1(VALU_DEP_4)
	v_mul_f64_e32 v[2:3], s[28:29], v[0:1]
	v_mul_f64_e32 v[0:1], 0.5, v[0:1]
	v_fma_f64 v[14:15], v[29:30], s[26:27], v[36:37]
	v_fma_f64 v[18:19], v[18:19], s[28:29], v[172:173]
	v_fma_f64 v[12:13], v[10:11], 0.5, v[2:3]
	s_delay_alu instid0(VALU_DEP_4) | instskip(SKIP_1) | instid1(VALU_DEP_2)
	v_fma_f64 v[50:51], v[10:11], s[26:27], v[0:1]
	v_fma_f64 v[10:11], v[16:17], s[28:29], v[166:167]
	v_add_f64_e32 v[2:3], v[56:57], v[50:51]
	s_delay_alu instid0(VALU_DEP_2)
	v_add_f64_e32 v[0:1], v[10:11], v[12:13]
	v_add_f64_e64 v[10:11], v[10:11], -v[12:13]
	v_add_f64_e64 v[12:13], v[56:57], -v[50:51]
	v_fma_f64 v[50:51], v[16:17], s[26:27], v[166:167]
	v_mul_f64_e32 v[16:17], s[28:29], v[4:5]
	v_mul_f64_e32 v[4:5], -0.5, v[4:5]
	s_delay_alu instid0(VALU_DEP_2) | instskip(NEXT) | instid1(VALU_DEP_2)
	v_fma_f64 v[29:30], v[14:15], -0.5, v[16:17]
	v_fma_f64 v[4:5], v[14:15], s[26:27], v[4:5]
	s_delay_alu instid0(VALU_DEP_2) | instskip(NEXT) | instid1(VALU_DEP_2)
	v_add_f64_e32 v[14:15], v[50:51], v[29:30]
	v_add_f64_e32 v[16:17], v[18:19], v[4:5]
	v_add_f64_e64 v[76:77], v[50:51], -v[29:30]
	v_add_f64_e64 v[78:79], v[18:19], -v[4:5]
	ds_store_b128 v20, v[96:99]
	ds_store_b128 v20, v[100:103] offset:28800
	ds_store_b128 v20, v[104:107] offset:1920
	;; [unrolled: 1-line block ×29, first 2 shown]
	global_wb scope:SCOPE_SE
	s_wait_dscnt 0x0
	s_barrier_signal -1
	s_barrier_wait -1
	global_inv scope:SCOPE_SE
	s_clause 0x5
	scratch_load_b128 v[6:9], off, off offset:476 th:TH_LOAD_LU
	scratch_load_b128 v[27:30], off, off offset:460 th:TH_LOAD_LU
	;; [unrolled: 1-line block ×6, first 2 shown]
	ds_load_b128 v[0:3], v20
	s_clause 0xd
	scratch_load_b128 v[31:34], off, off offset:348 th:TH_LOAD_LU
	scratch_load_b128 v[35:38], off, off offset:364 th:TH_LOAD_LU
	scratch_load_b128 v[39:42], off, off offset:300 th:TH_LOAD_LU
	scratch_load_b128 v[47:50], off, off offset:284 th:TH_LOAD_LU
	scratch_load_b128 v[43:46], off, off offset:316 th:TH_LOAD_LU
	scratch_load_b128 v[59:62], off, off offset:332 th:TH_LOAD_LU
	scratch_load_b128 v[51:54], off, off offset:252 th:TH_LOAD_LU
	scratch_load_b128 v[55:58], off, off offset:268 th:TH_LOAD_LU
	scratch_load_b128 v[67:70], off, off offset:156 th:TH_LOAD_LU
	scratch_load_b128 v[87:90], off, off offset:172 th:TH_LOAD_LU
	scratch_load_b128 v[71:74], off, off offset:236 th:TH_LOAD_LU
	scratch_load_b128 v[75:78], off, off offset:220 th:TH_LOAD_LU
	scratch_load_b128 v[79:82], off, off offset:204 th:TH_LOAD_LU
	scratch_load_b128 v[83:86], off, off offset:188 th:TH_LOAD_LU
	s_wait_loadcnt_dscnt 0x1300
	v_mul_f64_e32 v[4:5], v[8:9], v[2:3]
	s_delay_alu instid0(VALU_DEP_1) | instskip(SKIP_1) | instid1(VALU_DEP_1)
	v_fma_f64 v[4:5], v[6:7], v[0:1], v[4:5]
	v_mul_f64_e32 v[0:1], v[8:9], v[0:1]
	v_fma_f64 v[6:7], v[6:7], v[2:3], -v[0:1]
	ds_load_b128 v[0:3], v20 offset:5760
	s_wait_loadcnt_dscnt 0x1100
	v_mul_f64_e32 v[8:9], v[12:13], v[2:3]
	s_delay_alu instid0(VALU_DEP_1) | instskip(SKIP_1) | instid1(VALU_DEP_1)
	v_fma_f64 v[8:9], v[10:11], v[0:1], v[8:9]
	v_mul_f64_e32 v[0:1], v[12:13], v[0:1]
	v_fma_f64 v[10:11], v[10:11], v[2:3], -v[0:1]
	ds_load_b128 v[0:3], v20 offset:11520
	s_wait_loadcnt_dscnt 0xf00
	v_mul_f64_e32 v[12:13], v[16:17], v[2:3]
	s_delay_alu instid0(VALU_DEP_1) | instskip(SKIP_1) | instid1(VALU_DEP_1)
	v_fma_f64 v[12:13], v[14:15], v[0:1], v[12:13]
	v_mul_f64_e32 v[0:1], v[16:17], v[0:1]
	v_fma_f64 v[14:15], v[14:15], v[2:3], -v[0:1]
	ds_load_b128 v[0:3], v20 offset:17280
	s_wait_loadcnt_dscnt 0xe00
	v_mul_f64_e32 v[16:17], v[23:24], v[2:3]
	s_delay_alu instid0(VALU_DEP_1)
	v_fma_f64 v[16:17], v[21:22], v[0:1], v[16:17]
	v_mul_f64_e32 v[0:1], v[23:24], v[0:1]
	scratch_load_b128 v[23:26], off, off offset:444 th:TH_LOAD_LU ; 16-byte Folded Reload
	v_fma_f64 v[18:19], v[21:22], v[2:3], -v[0:1]
	ds_load_b128 v[0:3], v20 offset:23040
	s_wait_loadcnt_dscnt 0x0
	v_mul_f64_e32 v[21:22], v[25:26], v[2:3]
	s_delay_alu instid0(VALU_DEP_1) | instskip(SKIP_1) | instid1(VALU_DEP_1)
	v_fma_f64 v[21:22], v[23:24], v[0:1], v[21:22]
	v_mul_f64_e32 v[0:1], v[25:26], v[0:1]
	v_fma_f64 v[23:24], v[23:24], v[2:3], -v[0:1]
	ds_load_b128 v[0:3], v20 offset:28800
	s_wait_dscnt 0x0
	v_mul_f64_e32 v[25:26], v[29:30], v[2:3]
	s_delay_alu instid0(VALU_DEP_1) | instskip(SKIP_1) | instid1(VALU_DEP_1)
	v_fma_f64 v[25:26], v[27:28], v[0:1], v[25:26]
	v_mul_f64_e32 v[0:1], v[29:30], v[0:1]
	v_fma_f64 v[27:28], v[27:28], v[2:3], -v[0:1]
	ds_load_b128 v[0:3], v20 offset:34560
	s_wait_dscnt 0x0
	v_mul_f64_e32 v[29:30], v[33:34], v[2:3]
	s_delay_alu instid0(VALU_DEP_1) | instskip(SKIP_1) | instid1(VALU_DEP_1)
	v_fma_f64 v[29:30], v[31:32], v[0:1], v[29:30]
	v_mul_f64_e32 v[0:1], v[33:34], v[0:1]
	v_fma_f64 v[31:32], v[31:32], v[2:3], -v[0:1]
	ds_load_b128 v[0:3], v20 offset:40320
	s_wait_dscnt 0x0
	v_mul_f64_e32 v[33:34], v[37:38], v[2:3]
	s_delay_alu instid0(VALU_DEP_1) | instskip(SKIP_1) | instid1(VALU_DEP_1)
	v_fma_f64 v[33:34], v[35:36], v[0:1], v[33:34]
	v_mul_f64_e32 v[0:1], v[37:38], v[0:1]
	v_fma_f64 v[35:36], v[35:36], v[2:3], -v[0:1]
	ds_load_b128 v[0:3], v20 offset:46080
	s_wait_dscnt 0x0
	v_mul_f64_e32 v[37:38], v[41:42], v[2:3]
	s_delay_alu instid0(VALU_DEP_1) | instskip(SKIP_1) | instid1(VALU_DEP_1)
	v_fma_f64 v[37:38], v[39:40], v[0:1], v[37:38]
	v_mul_f64_e32 v[0:1], v[41:42], v[0:1]
	v_fma_f64 v[39:40], v[39:40], v[2:3], -v[0:1]
	ds_load_b128 v[0:3], v20 offset:51840
	s_wait_dscnt 0x0
	v_mul_f64_e32 v[41:42], v[45:46], v[2:3]
	s_delay_alu instid0(VALU_DEP_1) | instskip(SKIP_1) | instid1(VALU_DEP_1)
	v_fma_f64 v[41:42], v[43:44], v[0:1], v[41:42]
	v_mul_f64_e32 v[0:1], v[45:46], v[0:1]
	v_fma_f64 v[43:44], v[43:44], v[2:3], -v[0:1]
	ds_load_b128 v[0:3], v20 offset:1920
	s_wait_dscnt 0x0
	v_mul_f64_e32 v[45:46], v[49:50], v[2:3]
	s_delay_alu instid0(VALU_DEP_1) | instskip(SKIP_1) | instid1(VALU_DEP_1)
	v_fma_f64 v[45:46], v[47:48], v[0:1], v[45:46]
	v_mul_f64_e32 v[0:1], v[49:50], v[0:1]
	v_fma_f64 v[47:48], v[47:48], v[2:3], -v[0:1]
	ds_load_b128 v[0:3], v20 offset:7680
	s_wait_dscnt 0x0
	v_mul_f64_e32 v[49:50], v[53:54], v[2:3]
	s_delay_alu instid0(VALU_DEP_1) | instskip(SKIP_1) | instid1(VALU_DEP_1)
	v_fma_f64 v[49:50], v[51:52], v[0:1], v[49:50]
	v_mul_f64_e32 v[0:1], v[53:54], v[0:1]
	v_fma_f64 v[51:52], v[51:52], v[2:3], -v[0:1]
	ds_load_b128 v[0:3], v20 offset:13440
	s_wait_dscnt 0x0
	v_mul_f64_e32 v[53:54], v[57:58], v[2:3]
	s_delay_alu instid0(VALU_DEP_1) | instskip(SKIP_1) | instid1(VALU_DEP_1)
	v_fma_f64 v[53:54], v[55:56], v[0:1], v[53:54]
	v_mul_f64_e32 v[0:1], v[57:58], v[0:1]
	v_fma_f64 v[55:56], v[55:56], v[2:3], -v[0:1]
	ds_load_b128 v[0:3], v20 offset:19200
	s_wait_dscnt 0x0
	v_mul_f64_e32 v[57:58], v[61:62], v[2:3]
	s_delay_alu instid0(VALU_DEP_1) | instskip(SKIP_1) | instid1(VALU_DEP_1)
	v_fma_f64 v[57:58], v[59:60], v[0:1], v[57:58]
	v_mul_f64_e32 v[0:1], v[61:62], v[0:1]
	v_fma_f64 v[59:60], v[59:60], v[2:3], -v[0:1]
	ds_load_b128 v[0:3], v20 offset:24960
	s_wait_dscnt 0x0
	v_mul_f64_e32 v[61:62], v[65:66], v[2:3]
	s_delay_alu instid0(VALU_DEP_1) | instskip(SKIP_1) | instid1(VALU_DEP_1)
	v_fma_f64 v[61:62], v[63:64], v[0:1], v[61:62]
	v_mul_f64_e32 v[0:1], v[65:66], v[0:1]
	v_fma_f64 v[63:64], v[63:64], v[2:3], -v[0:1]
	ds_load_b128 v[0:3], v20 offset:30720
	s_wait_dscnt 0x0
	v_mul_f64_e32 v[65:66], v[69:70], v[2:3]
	s_delay_alu instid0(VALU_DEP_1) | instskip(SKIP_1) | instid1(VALU_DEP_1)
	v_fma_f64 v[65:66], v[67:68], v[0:1], v[65:66]
	v_mul_f64_e32 v[0:1], v[69:70], v[0:1]
	v_fma_f64 v[67:68], v[67:68], v[2:3], -v[0:1]
	ds_load_b128 v[0:3], v20 offset:36480
	s_wait_dscnt 0x0
	v_mul_f64_e32 v[69:70], v[73:74], v[2:3]
	s_delay_alu instid0(VALU_DEP_1) | instskip(SKIP_1) | instid1(VALU_DEP_1)
	v_fma_f64 v[69:70], v[71:72], v[0:1], v[69:70]
	v_mul_f64_e32 v[0:1], v[73:74], v[0:1]
	v_fma_f64 v[71:72], v[71:72], v[2:3], -v[0:1]
	ds_load_b128 v[0:3], v20 offset:42240
	s_wait_dscnt 0x0
	v_mul_f64_e32 v[73:74], v[77:78], v[2:3]
	s_delay_alu instid0(VALU_DEP_1) | instskip(SKIP_1) | instid1(VALU_DEP_1)
	v_fma_f64 v[73:74], v[75:76], v[0:1], v[73:74]
	v_mul_f64_e32 v[0:1], v[77:78], v[0:1]
	v_fma_f64 v[75:76], v[75:76], v[2:3], -v[0:1]
	ds_load_b128 v[0:3], v20 offset:48000
	s_wait_dscnt 0x0
	v_mul_f64_e32 v[77:78], v[81:82], v[2:3]
	s_delay_alu instid0(VALU_DEP_1) | instskip(SKIP_1) | instid1(VALU_DEP_1)
	v_fma_f64 v[77:78], v[79:80], v[0:1], v[77:78]
	v_mul_f64_e32 v[0:1], v[81:82], v[0:1]
	v_fma_f64 v[79:80], v[79:80], v[2:3], -v[0:1]
	ds_load_b128 v[0:3], v20 offset:53760
	s_wait_dscnt 0x0
	v_mul_f64_e32 v[81:82], v[85:86], v[2:3]
	s_delay_alu instid0(VALU_DEP_1) | instskip(SKIP_1) | instid1(VALU_DEP_1)
	v_fma_f64 v[81:82], v[83:84], v[0:1], v[81:82]
	v_mul_f64_e32 v[0:1], v[85:86], v[0:1]
	v_fma_f64 v[83:84], v[83:84], v[2:3], -v[0:1]
	ds_load_b128 v[0:3], v20 offset:3840
	s_wait_dscnt 0x0
	v_mul_f64_e32 v[85:86], v[89:90], v[2:3]
	s_delay_alu instid0(VALU_DEP_1) | instskip(SKIP_1) | instid1(VALU_DEP_1)
	v_fma_f64 v[85:86], v[87:88], v[0:1], v[85:86]
	v_mul_f64_e32 v[0:1], v[89:90], v[0:1]
	v_fma_f64 v[87:88], v[87:88], v[2:3], -v[0:1]
	scratch_load_b64 v[1:2], off, off offset:4 th:TH_LOAD_LU ; 8-byte Folded Reload
	s_wait_loadcnt 0x0
	s_wait_alu 0xfffe
	v_mul_f64_e32 v[2:3], s[2:3], v[6:7]
	scratch_load_b32 v6, off, off offset:492 th:TH_LOAD_LU ; 4-byte Folded Reload
	v_mad_co_u64_u32 v[89:90], null, s6, v1, 0
	s_mul_i32 s6, s5, 0xffff3d00
	s_wait_alu 0xfffe
	s_sub_co_i32 s6, s6, s4
	s_delay_alu instid0(VALU_DEP_1) | instskip(NEXT) | instid1(VALU_DEP_1)
	v_mov_b32_e32 v0, v90
	v_mad_co_u64_u32 v[0:1], null, s7, v1, v[0:1]
	s_delay_alu instid0(VALU_DEP_1) | instskip(SKIP_3) | instid1(VALU_DEP_1)
	v_mov_b32_e32 v90, v0
	v_mul_f64_e32 v[0:1], s[2:3], v[4:5]
	s_wait_loadcnt 0x0
	v_mad_co_u64_u32 v[4:5], null, s4, v6, 0
	v_mad_co_u64_u32 v[5:6], null, s5, v6, v[5:6]
	v_lshlrev_b64_e32 v[6:7], 4, v[89:90]
	s_delay_alu instid0(VALU_DEP_2) | instskip(NEXT) | instid1(VALU_DEP_2)
	v_lshlrev_b64_e32 v[4:5], 4, v[4:5]
	v_add_co_u32 v93, vcc_lo, s0, v6
	s_wait_alu 0xfffd
	s_delay_alu instid0(VALU_DEP_3) | instskip(SKIP_1) | instid1(VALU_DEP_2)
	v_add_co_ci_u32_e32 v94, vcc_lo, s1, v7, vcc_lo
	s_mul_u64 s[0:1], s[4:5], 0x1680
	v_add_co_u32 v4, vcc_lo, v93, v4
	s_wait_alu 0xfffd
	s_delay_alu instid0(VALU_DEP_2)
	v_add_co_ci_u32_e32 v5, vcc_lo, v94, v5, vcc_lo
	v_mul_f64_e32 v[6:7], s[2:3], v[31:32]
	global_store_b128 v[4:5], v[0:3], off
	v_mul_f64_e32 v[0:1], s[2:3], v[8:9]
	v_mul_f64_e32 v[2:3], s[2:3], v[10:11]
	s_wait_alu 0xfffe
	v_add_co_u32 v4, vcc_lo, v4, s0
	s_wait_alu 0xfffd
	v_add_co_ci_u32_e32 v5, vcc_lo, s1, v5, vcc_lo
	v_mul_f64_e32 v[8:9], s[2:3], v[33:34]
	v_mul_f64_e32 v[10:11], s[2:3], v[35:36]
	;; [unrolled: 1-line block ×3, first 2 shown]
	global_store_b128 v[4:5], v[0:3], off
	v_mul_f64_e32 v[0:1], s[2:3], v[12:13]
	v_mul_f64_e32 v[2:3], s[2:3], v[14:15]
	v_add_co_u32 v4, vcc_lo, v4, s0
	s_wait_alu 0xfffd
	v_add_co_ci_u32_e32 v5, vcc_lo, s1, v5, vcc_lo
	v_mul_f64_e32 v[12:13], s[2:3], v[37:38]
	v_mul_f64_e32 v[14:15], s[2:3], v[39:40]
	global_store_b128 v[4:5], v[0:3], off
	v_mul_f64_e32 v[0:1], s[2:3], v[16:17]
	v_mul_f64_e32 v[2:3], s[2:3], v[18:19]
	v_add_co_u32 v4, vcc_lo, v4, s0
	s_wait_alu 0xfffd
	v_add_co_ci_u32_e32 v5, vcc_lo, s1, v5, vcc_lo
	v_mul_f64_e32 v[18:19], s[2:3], v[43:44]
	s_delay_alu instid0(VALU_DEP_3) | instskip(SKIP_1) | instid1(VALU_DEP_3)
	v_add_co_u32 v16, vcc_lo, v4, s0
	s_wait_alu 0xfffd
	v_add_co_ci_u32_e32 v17, vcc_lo, s1, v5, vcc_lo
	global_store_b128 v[4:5], v[0:3], off
	v_mul_f64_e32 v[0:1], s[2:3], v[21:22]
	v_mul_f64_e32 v[2:3], s[2:3], v[23:24]
	;; [unrolled: 1-line block ×5, first 2 shown]
	scratch_load_b128 v[45:48], off, off offset:60 th:TH_LOAD_LU ; 16-byte Folded Reload
	global_store_b128 v[16:17], v[0:3], off
	v_mul_f64_e32 v[0:1], s[2:3], v[25:26]
	v_mul_f64_e32 v[2:3], s[2:3], v[27:28]
	v_add_co_u32 v16, vcc_lo, v16, s0
	s_wait_alu 0xfffd
	v_add_co_ci_u32_e32 v17, vcc_lo, s1, v17, vcc_lo
	v_mul_f64_e32 v[27:28], s[2:3], v[51:52]
	s_delay_alu instid0(VALU_DEP_3) | instskip(SKIP_1) | instid1(VALU_DEP_3)
	v_add_co_u32 v25, vcc_lo, v16, s0
	s_wait_alu 0xfffd
	v_add_co_ci_u32_e32 v26, vcc_lo, s1, v17, vcc_lo
	s_delay_alu instid0(VALU_DEP_2) | instskip(SKIP_1) | instid1(VALU_DEP_2)
	v_add_co_u32 v29, vcc_lo, v25, s0
	s_wait_alu 0xfffd
	v_add_co_ci_u32_e32 v30, vcc_lo, s1, v26, vcc_lo
	s_delay_alu instid0(VALU_DEP_2) | instskip(SKIP_1) | instid1(VALU_DEP_2)
	;; [unrolled: 4-line block ×3, first 2 shown]
	v_add_co_u32 v37, vcc_lo, v33, s0
	s_wait_alu 0xfffd
	v_add_co_ci_u32_e32 v38, vcc_lo, s1, v34, vcc_lo
	s_delay_alu instid0(VALU_DEP_1) | instskip(NEXT) | instid1(VALU_DEP_1)
	v_mad_co_u64_u32 v[39:40], null, 0xffff3d00, s4, v[37:38]
	v_add_nc_u32_e32 v40, s6, v40
	global_store_b128 v[16:17], v[0:3], off
	v_mul_f64_e32 v[16:17], s[2:3], v[41:42]
	global_store_b128 v[25:26], v[4:7], off
	global_store_b128 v[29:30], v[8:11], off
	global_store_b128 v[33:34], v[12:15], off
	v_mul_f64_e32 v[25:26], s[2:3], v[49:50]
	v_mul_f64_e32 v[10:11], s[2:3], v[55:56]
	;; [unrolled: 1-line block ×3, first 2 shown]
	ds_load_b128 v[0:3], v20 offset:15360
	v_mul_f64_e32 v[12:13], s[2:3], v[57:58]
	ds_load_b128 v[4:7], v20 offset:9600
	ds_load_b128 v[29:32], v20 offset:21120
	v_mul_f64_e32 v[14:15], s[2:3], v[59:60]
	v_mul_f64_e32 v[33:34], s[2:3], v[61:62]
	global_store_b128 v[37:38], v[16:19], off
	global_store_b128 v[39:40], v[21:24], off
	scratch_load_b128 v[21:24], off, off offset:92 th:TH_LOAD_LU ; 16-byte Folded Reload
	ds_load_b128 v[16:19], v20 offset:26880
	s_wait_loadcnt 0x1
	v_dual_mov_b32 v58, v46 :: v_dual_mov_b32 v57, v45
	s_wait_dscnt 0x2
	v_mul_f64_e32 v[41:42], v[47:48], v[6:7]
	v_mul_f64_e32 v[43:44], v[47:48], v[4:5]
	s_delay_alu instid0(VALU_DEP_2) | instskip(NEXT) | instid1(VALU_DEP_2)
	v_fma_f64 v[41:42], v[57:58], v[4:5], v[41:42]
	v_fma_f64 v[43:44], v[57:58], v[6:7], -v[43:44]
	s_wait_loadcnt 0x0
	v_dual_mov_b32 v56, v22 :: v_dual_mov_b32 v55, v21
	v_add_co_u32 v21, vcc_lo, v39, s0
	s_wait_alu 0xfffd
	v_add_co_ci_u32_e32 v22, vcc_lo, s1, v40, vcc_lo
	v_mul_f64_e32 v[37:38], v[23:24], v[2:3]
	v_mul_f64_e32 v[45:46], v[23:24], v[0:1]
	v_add_co_u32 v23, vcc_lo, v21, s0
	global_store_b128 v[21:22], v[25:28], off
	scratch_load_b128 v[25:28], off, off offset:76 th:TH_LOAD_LU ; 16-byte Folded Reload
	s_wait_alu 0xfffd
	v_add_co_ci_u32_e32 v24, vcc_lo, s1, v22, vcc_lo
	v_add_co_u32 v21, vcc_lo, v23, s0
	global_store_b128 v[23:24], v[8:11], off
	scratch_load_b128 v[8:11], off, off offset:124 th:TH_LOAD_LU ; 16-byte Folded Reload
	s_wait_alu 0xfffd
	v_add_co_ci_u32_e32 v22, vcc_lo, s1, v24, vcc_lo
	v_add_co_u32 v23, vcc_lo, v21, s0
	s_wait_alu 0xfffd
	s_delay_alu instid0(VALU_DEP_2)
	v_add_co_ci_u32_e32 v24, vcc_lo, s1, v22, vcc_lo
	global_store_b128 v[21:22], v[12:15], off
	v_mad_co_u64_u32 v[53:54], null, 0x2d00, s4, v[23:24]
	v_fma_f64 v[37:38], v[55:56], v[0:1], v[37:38]
	v_fma_f64 v[45:46], v[55:56], v[2:3], -v[45:46]
	s_wait_loadcnt_dscnt 0x101
	v_mul_f64_e32 v[39:40], v[27:28], v[31:32]
	v_mul_f64_e32 v[47:48], v[27:28], v[29:30]
	v_dual_mov_b32 v64, v26 :: v_dual_mov_b32 v63, v25
	v_mov_b32_e32 v27, v54
	v_mul_f64_e32 v[25:26], s[2:3], v[65:66]
	s_wait_loadcnt 0x0
	v_mov_b32_e32 v90, v9
	s_wait_dscnt 0x0
	v_mul_f64_e32 v[49:50], v[10:11], v[18:19]
	v_mul_f64_e32 v[51:52], v[10:11], v[16:17]
	v_mov_b32_e32 v89, v8
	ds_load_b128 v[8:11], v20 offset:32640
	ds_load_b128 v[4:7], v20 offset:38400
	;; [unrolled: 1-line block ×3, first 2 shown]
	v_mad_co_u64_u32 v[54:55], null, 0x2d00, s5, v[27:28]
	v_mul_f64_e32 v[27:28], s[2:3], v[67:68]
	s_clause 0x2
	scratch_load_b128 v[65:68], off, off offset:28 th:TH_LOAD_LU
	scratch_load_b128 v[59:62], off, off offset:12 th:TH_LOAD_LU
	scratch_load_b32 v95, off, off th:TH_LOAD_LU
	global_store_b128 v[23:24], v[33:36], off
	ds_load_b128 v[21:24], v20 offset:44160
	ds_load_b128 v[0:3], v20 offset:55680
	v_mul_f64_e32 v[33:34], s[2:3], v[69:70]
	v_mul_f64_e32 v[35:36], s[2:3], v[71:72]
	v_fma_f64 v[39:40], v[63:64], v[29:30], v[39:40]
	v_fma_f64 v[47:48], v[63:64], v[31:32], -v[47:48]
	scratch_load_b128 v[29:32], off, off offset:44 th:TH_LOAD_LU ; 16-byte Folded Reload
	v_fma_f64 v[49:50], v[89:90], v[16:17], v[49:50]
	v_fma_f64 v[51:52], v[89:90], v[18:19], -v[51:52]
	scratch_load_b128 v[16:19], off, off offset:140 th:TH_LOAD_LU ; 16-byte Folded Reload
	s_wait_loadcnt 0x4
	v_mov_b32_e32 v99, v66
	s_wait_loadcnt_dscnt 0x304
	v_mul_f64_e32 v[55:56], v[61:62], v[10:11]
	v_mul_f64_e32 v[57:58], v[61:62], v[8:9]
	s_wait_dscnt 0x3
	v_mul_f64_e32 v[61:62], v[67:68], v[6:7]
	v_mul_f64_e32 v[63:64], v[67:68], v[4:5]
	v_dual_mov_b32 v98, v65 :: v_dual_mov_b32 v97, v60
	v_mov_b32_e32 v96, v59
	s_wait_loadcnt 0x2
	v_mad_co_u64_u32 v[59:60], null, s4, v95, 0
	s_wait_loadcnt 0x1
	s_delay_alu instid0(VALU_DEP_1)
	v_dual_mov_b32 v20, v60 :: v_dual_mov_b32 v101, v30
	s_wait_dscnt 0x1
	v_mul_f64_e32 v[65:66], v[31:32], v[23:24]
	v_mul_f64_e32 v[67:68], v[31:32], v[21:22]
	v_mov_b32_e32 v100, v29
	scratch_load_b128 v[29:32], off, off offset:108 th:TH_LOAD_LU ; 16-byte Folded Reload
	s_wait_loadcnt_dscnt 0x100
	v_mul_f64_e32 v[89:90], v[18:19], v[2:3]
	v_mul_f64_e32 v[91:92], v[18:19], v[0:1]
	v_dual_mov_b32 v105, v17 :: v_dual_mov_b32 v104, v16
	v_mul_f64_e32 v[16:17], s[2:3], v[73:74]
	v_mul_f64_e32 v[18:19], s[2:3], v[75:76]
	v_mad_co_u64_u32 v[73:74], null, s5, v95, v[20:21]
	v_fma_f64 v[55:56], v[96:97], v[8:9], v[55:56]
	v_fma_f64 v[57:58], v[96:97], v[10:11], -v[57:58]
	v_fma_f64 v[61:62], v[98:99], v[4:5], v[61:62]
	v_fma_f64 v[63:64], v[98:99], v[6:7], -v[63:64]
	v_mul_f64_e32 v[6:7], s[2:3], v[87:88]
	v_mov_b32_e32 v60, v73
	v_add_co_u32 v73, vcc_lo, v53, s0
	s_wait_alu 0xfffd
	v_add_co_ci_u32_e32 v74, vcc_lo, s1, v54, vcc_lo
	s_delay_alu instid0(VALU_DEP_3) | instskip(NEXT) | instid1(VALU_DEP_3)
	v_lshlrev_b64_e32 v[10:11], 4, v[59:60]
	v_add_co_u32 v8, vcc_lo, v73, s0
	s_wait_alu 0xfffd
	s_delay_alu instid0(VALU_DEP_3) | instskip(NEXT) | instid1(VALU_DEP_2)
	v_add_co_ci_u32_e32 v9, vcc_lo, s1, v74, vcc_lo
	v_add_co_u32 v59, vcc_lo, v8, s0
	s_wait_alu 0xfffd
	s_delay_alu instid0(VALU_DEP_2)
	v_add_co_ci_u32_e32 v60, vcc_lo, s1, v9, vcc_lo
	v_add_co_u32 v4, vcc_lo, v93, v10
	v_fma_f64 v[65:66], v[100:101], v[21:22], v[65:66]
	v_fma_f64 v[67:68], v[100:101], v[23:24], -v[67:68]
	s_wait_alu 0xfffd
	v_add_co_ci_u32_e32 v5, vcc_lo, v94, v11, vcc_lo
	global_store_b128 v[4:5], v[25:28], off
	global_store_b128 v[53:54], v[33:36], off
	;; [unrolled: 1-line block ×3, first 2 shown]
	v_fma_f64 v[75:76], v[104:105], v[0:1], v[89:90]
	v_mul_f64_e32 v[0:1], s[2:3], v[81:82]
	v_mul_f64_e32 v[4:5], s[2:3], v[85:86]
	;; [unrolled: 1-line block ×10, first 2 shown]
	s_wait_loadcnt 0x0
	v_mul_f64_e32 v[69:70], v[31:32], v[14:15]
	v_mul_f64_e32 v[71:72], v[31:32], v[12:13]
	v_dual_mov_b32 v103, v30 :: v_dual_mov_b32 v102, v29
	v_mul_f64_e32 v[29:30], s[2:3], v[77:78]
	v_mul_f64_e32 v[31:32], s[2:3], v[79:80]
	v_fma_f64 v[77:78], v[104:105], v[2:3], -v[91:92]
	v_mul_f64_e32 v[2:3], s[2:3], v[83:84]
	v_mad_co_u64_u32 v[79:80], null, 0xffff3d00, s4, v[59:60]
	s_delay_alu instid0(VALU_DEP_1) | instskip(NEXT) | instid1(VALU_DEP_2)
	v_add_nc_u32_e32 v80, s6, v80
	v_add_co_u32 v53, vcc_lo, v79, s0
	s_wait_alu 0xfffd
	s_delay_alu instid0(VALU_DEP_2) | instskip(NEXT) | instid1(VALU_DEP_2)
	v_add_co_ci_u32_e32 v54, vcc_lo, s1, v80, vcc_lo
	v_add_co_u32 v44, vcc_lo, v53, s0
	v_fma_f64 v[69:70], v[102:103], v[12:13], v[69:70]
	v_fma_f64 v[71:72], v[102:103], v[14:15], -v[71:72]
	v_mul_f64_e32 v[12:13], s[2:3], v[37:38]
	v_mul_f64_e32 v[14:15], s[2:3], v[45:46]
	s_wait_alu 0xfffd
	v_add_co_ci_u32_e32 v45, vcc_lo, s1, v54, vcc_lo
	global_store_b128 v[8:9], v[29:32], off
	v_mul_f64_e32 v[8:9], s[2:3], v[41:42]
	v_mul_f64_e32 v[28:29], s[2:3], v[61:62]
	;; [unrolled: 1-line block ×6, first 2 shown]
	v_add_co_u32 v46, vcc_lo, v44, s0
	s_wait_alu 0xfffd
	v_add_co_ci_u32_e32 v47, vcc_lo, s1, v45, vcc_lo
	global_store_b128 v[59:60], v[0:3], off
	v_add_co_u32 v0, vcc_lo, v46, s0
	s_wait_alu 0xfffd
	v_add_co_ci_u32_e32 v1, vcc_lo, s1, v47, vcc_lo
	global_store_b128 v[79:80], v[4:7], off
	v_add_co_u32 v2, vcc_lo, v0, s0
	s_wait_alu 0xfffd
	v_add_co_ci_u32_e32 v3, vcc_lo, s1, v1, vcc_lo
	s_delay_alu instid0(VALU_DEP_2) | instskip(SKIP_1) | instid1(VALU_DEP_2)
	v_add_co_u32 v4, vcc_lo, v2, s0
	s_wait_alu 0xfffd
	v_add_co_ci_u32_e32 v5, vcc_lo, s1, v3, vcc_lo
	s_delay_alu instid0(VALU_DEP_2) | instskip(SKIP_1) | instid1(VALU_DEP_2)
	v_add_co_u32 v6, vcc_lo, v4, s0
	s_wait_alu 0xfffd
	v_add_co_ci_u32_e32 v7, vcc_lo, s1, v5, vcc_lo
	v_mul_f64_e32 v[36:37], s[2:3], v[69:70]
	v_mul_f64_e32 v[38:39], s[2:3], v[71:72]
	global_store_b128 v[53:54], v[8:11], off
	v_add_co_u32 v8, vcc_lo, v6, s0
	s_wait_alu 0xfffd
	v_add_co_ci_u32_e32 v9, vcc_lo, s1, v7, vcc_lo
	global_store_b128 v[44:45], v[12:15], off
	global_store_b128 v[46:47], v[16:19], off
	;; [unrolled: 1-line block ×3, first 2 shown]
	v_add_co_u32 v0, vcc_lo, v8, s0
	s_wait_alu 0xfffd
	v_add_co_ci_u32_e32 v1, vcc_lo, s1, v9, vcc_lo
	global_store_b128 v[2:3], v[24:27], off
	global_store_b128 v[4:5], v[28:31], off
	;; [unrolled: 1-line block ×5, first 2 shown]
.LBB0_2:
	s_nop 0
	s_sendmsg sendmsg(MSG_DEALLOC_VGPRS)
	s_endpgm
	.section	.rodata,"a",@progbits
	.p2align	6, 0x0
	.amdhsa_kernel bluestein_single_back_len3600_dim1_dp_op_CI_CI
		.amdhsa_group_segment_fixed_size 57600
		.amdhsa_private_segment_fixed_size 1416
		.amdhsa_kernarg_size 104
		.amdhsa_user_sgpr_count 2
		.amdhsa_user_sgpr_dispatch_ptr 0
		.amdhsa_user_sgpr_queue_ptr 0
		.amdhsa_user_sgpr_kernarg_segment_ptr 1
		.amdhsa_user_sgpr_dispatch_id 0
		.amdhsa_user_sgpr_private_segment_size 0
		.amdhsa_wavefront_size32 1
		.amdhsa_uses_dynamic_stack 0
		.amdhsa_enable_private_segment 1
		.amdhsa_system_sgpr_workgroup_id_x 1
		.amdhsa_system_sgpr_workgroup_id_y 0
		.amdhsa_system_sgpr_workgroup_id_z 0
		.amdhsa_system_sgpr_workgroup_info 0
		.amdhsa_system_vgpr_workitem_id 0
		.amdhsa_next_free_vgpr 256
		.amdhsa_next_free_sgpr 30
		.amdhsa_reserve_vcc 1
		.amdhsa_float_round_mode_32 0
		.amdhsa_float_round_mode_16_64 0
		.amdhsa_float_denorm_mode_32 3
		.amdhsa_float_denorm_mode_16_64 3
		.amdhsa_fp16_overflow 0
		.amdhsa_workgroup_processor_mode 1
		.amdhsa_memory_ordered 1
		.amdhsa_forward_progress 0
		.amdhsa_round_robin_scheduling 0
		.amdhsa_exception_fp_ieee_invalid_op 0
		.amdhsa_exception_fp_denorm_src 0
		.amdhsa_exception_fp_ieee_div_zero 0
		.amdhsa_exception_fp_ieee_overflow 0
		.amdhsa_exception_fp_ieee_underflow 0
		.amdhsa_exception_fp_ieee_inexact 0
		.amdhsa_exception_int_div_zero 0
	.end_amdhsa_kernel
	.text
.Lfunc_end0:
	.size	bluestein_single_back_len3600_dim1_dp_op_CI_CI, .Lfunc_end0-bluestein_single_back_len3600_dim1_dp_op_CI_CI
                                        ; -- End function
	.section	.AMDGPU.csdata,"",@progbits
; Kernel info:
; codeLenInByte = 40576
; NumSgprs: 32
; NumVgprs: 256
; ScratchSize: 1416
; MemoryBound: 0
; FloatMode: 240
; IeeeMode: 1
; LDSByteSize: 57600 bytes/workgroup (compile time only)
; SGPRBlocks: 3
; VGPRBlocks: 31
; NumSGPRsForWavesPerEU: 32
; NumVGPRsForWavesPerEU: 256
; Occupancy: 2
; WaveLimiterHint : 1
; COMPUTE_PGM_RSRC2:SCRATCH_EN: 1
; COMPUTE_PGM_RSRC2:USER_SGPR: 2
; COMPUTE_PGM_RSRC2:TRAP_HANDLER: 0
; COMPUTE_PGM_RSRC2:TGID_X_EN: 1
; COMPUTE_PGM_RSRC2:TGID_Y_EN: 0
; COMPUTE_PGM_RSRC2:TGID_Z_EN: 0
; COMPUTE_PGM_RSRC2:TIDIG_COMP_CNT: 0
	.text
	.p2alignl 7, 3214868480
	.fill 96, 4, 3214868480
	.type	__hip_cuid_6b0710d5acdc7de1,@object ; @__hip_cuid_6b0710d5acdc7de1
	.section	.bss,"aw",@nobits
	.globl	__hip_cuid_6b0710d5acdc7de1
__hip_cuid_6b0710d5acdc7de1:
	.byte	0                               ; 0x0
	.size	__hip_cuid_6b0710d5acdc7de1, 1

	.ident	"AMD clang version 19.0.0git (https://github.com/RadeonOpenCompute/llvm-project roc-6.4.0 25133 c7fe45cf4b819c5991fe208aaa96edf142730f1d)"
	.section	".note.GNU-stack","",@progbits
	.addrsig
	.addrsig_sym __hip_cuid_6b0710d5acdc7de1
	.amdgpu_metadata
---
amdhsa.kernels:
  - .args:
      - .actual_access:  read_only
        .address_space:  global
        .offset:         0
        .size:           8
        .value_kind:     global_buffer
      - .actual_access:  read_only
        .address_space:  global
        .offset:         8
        .size:           8
        .value_kind:     global_buffer
      - .actual_access:  read_only
        .address_space:  global
        .offset:         16
        .size:           8
        .value_kind:     global_buffer
      - .actual_access:  read_only
        .address_space:  global
        .offset:         24
        .size:           8
        .value_kind:     global_buffer
      - .actual_access:  read_only
        .address_space:  global
        .offset:         32
        .size:           8
        .value_kind:     global_buffer
      - .offset:         40
        .size:           8
        .value_kind:     by_value
      - .address_space:  global
        .offset:         48
        .size:           8
        .value_kind:     global_buffer
      - .address_space:  global
        .offset:         56
        .size:           8
        .value_kind:     global_buffer
      - .address_space:  global
        .offset:         64
        .size:           8
        .value_kind:     global_buffer
      - .address_space:  global
        .offset:         72
        .size:           8
        .value_kind:     global_buffer
      - .offset:         80
        .size:           4
        .value_kind:     by_value
      - .address_space:  global
        .offset:         88
        .size:           8
        .value_kind:     global_buffer
      - .address_space:  global
        .offset:         96
        .size:           8
        .value_kind:     global_buffer
    .group_segment_fixed_size: 57600
    .kernarg_segment_align: 8
    .kernarg_segment_size: 104
    .language:       OpenCL C
    .language_version:
      - 2
      - 0
    .max_flat_workgroup_size: 120
    .name:           bluestein_single_back_len3600_dim1_dp_op_CI_CI
    .private_segment_fixed_size: 1416
    .sgpr_count:     32
    .sgpr_spill_count: 0
    .symbol:         bluestein_single_back_len3600_dim1_dp_op_CI_CI.kd
    .uniform_work_group_size: 1
    .uses_dynamic_stack: false
    .vgpr_count:     256
    .vgpr_spill_count: 355
    .wavefront_size: 32
    .workgroup_processor_mode: 1
amdhsa.target:   amdgcn-amd-amdhsa--gfx1201
amdhsa.version:
  - 1
  - 2
...

	.end_amdgpu_metadata
